;; amdgpu-corpus repo=ROCm/rocFFT kind=compiled arch=gfx906 opt=O3
	.text
	.amdgcn_target "amdgcn-amd-amdhsa--gfx906"
	.amdhsa_code_object_version 6
	.protected	bluestein_single_back_len1980_dim1_half_op_CI_CI ; -- Begin function bluestein_single_back_len1980_dim1_half_op_CI_CI
	.globl	bluestein_single_back_len1980_dim1_half_op_CI_CI
	.p2align	8
	.type	bluestein_single_back_len1980_dim1_half_op_CI_CI,@function
bluestein_single_back_len1980_dim1_half_op_CI_CI: ; @bluestein_single_back_len1980_dim1_half_op_CI_CI
; %bb.0:
	s_load_dwordx4 s[0:3], s[4:5], 0x28
	v_mul_u32_u24_e32 v1, 0x14b, v0
	v_add_u32_sdwa v4, s6, v1 dst_sel:DWORD dst_unused:UNUSED_PAD src0_sel:DWORD src1_sel:WORD_1
	v_mov_b32_e32 v5, 0
	s_waitcnt lgkmcnt(0)
	v_cmp_gt_u64_e32 vcc, s[0:1], v[4:5]
	s_and_saveexec_b64 s[0:1], vcc
	s_cbranch_execz .LBB0_31
; %bb.1:
	s_load_dwordx2 s[6:7], s[4:5], 0x0
	s_load_dwordx2 s[12:13], s[4:5], 0x38
	s_movk_i32 s0, 0xc6
	v_mul_lo_u16_sdwa v1, v1, s0 dst_sel:DWORD dst_unused:UNUSED_PAD src0_sel:WORD_1 src1_sel:DWORD
	v_sub_u16_e32 v32, v0, v1
	s_movk_i32 s0, 0xb4
	v_cmp_gt_u16_e64 s[0:1], s0, v32
	v_lshlrev_b32_e32 v31, 2, v32
	s_and_saveexec_b64 s[8:9], s[0:1]
	s_cbranch_execz .LBB0_3
; %bb.2:
	s_load_dwordx2 s[10:11], s[4:5], 0x18
	s_waitcnt lgkmcnt(0)
	s_load_dwordx4 s[16:19], s[10:11], 0x0
	s_waitcnt lgkmcnt(0)
	v_mad_u64_u32 v[0:1], s[10:11], s18, v4, 0
	v_mad_u64_u32 v[2:3], s[10:11], s16, v32, 0
	;; [unrolled: 1-line block ×4, first 2 shown]
	v_mov_b32_e32 v1, v5
	v_lshlrev_b64 v[0:1], 2, v[0:1]
	v_mov_b32_e32 v3, v6
	v_mov_b32_e32 v7, s3
	v_lshlrev_b64 v[2:3], 2, v[2:3]
	v_add_co_u32_e32 v0, vcc, s2, v0
	v_addc_co_u32_e32 v1, vcc, v7, v1, vcc
	v_add_co_u32_e32 v0, vcc, v0, v2
	v_addc_co_u32_e32 v1, vcc, v1, v3, vcc
	v_mov_b32_e32 v2, s7
	v_add_co_u32_e32 v5, vcc, s6, v31
	s_mul_i32 s2, s17, 0x2d0
	s_mul_hi_u32 s3, s16, 0x2d0
	v_addc_co_u32_e32 v6, vcc, 0, v2, vcc
	s_add_i32 s2, s3, s2
	s_mul_i32 s3, s16, 0x2d0
	v_mov_b32_e32 v3, s2
	v_add_co_u32_e32 v2, vcc, s3, v0
	v_addc_co_u32_e32 v3, vcc, v1, v3, vcc
	global_load_dword v7, v[0:1], off
	global_load_dword v8, v[2:3], off
	global_load_dword v9, v31, s[6:7]
	v_mov_b32_e32 v1, s2
	v_add_co_u32_e32 v0, vcc, s3, v2
	global_load_dword v10, v31, s[6:7] offset:720
	global_load_dword v11, v31, s[6:7] offset:1440
	v_addc_co_u32_e32 v1, vcc, v3, v1, vcc
	global_load_dword v12, v[0:1], off
	v_mov_b32_e32 v3, s2
	v_add_co_u32_e32 v2, vcc, s3, v0
	v_addc_co_u32_e32 v3, vcc, v1, v3, vcc
	v_mov_b32_e32 v1, s2
	v_add_co_u32_e32 v0, vcc, s3, v2
	v_addc_co_u32_e32 v1, vcc, v3, v1, vcc
	global_load_dword v13, v[2:3], off
	global_load_dword v14, v31, s[6:7] offset:2160
	global_load_dword v15, v[0:1], off
	v_mov_b32_e32 v2, s2
	v_add_co_u32_e32 v0, vcc, s3, v0
	v_addc_co_u32_e32 v1, vcc, v1, v2, vcc
	global_load_dword v16, v[0:1], off
	global_load_dword v17, v31, s[6:7] offset:2880
	global_load_dword v18, v31, s[6:7] offset:3600
	v_add_co_u32_e32 v0, vcc, s3, v0
	v_addc_co_u32_e32 v1, vcc, v1, v2, vcc
	s_movk_i32 s10, 0x1000
	v_add_co_u32_e32 v2, vcc, s10, v5
	global_load_dword v19, v[0:1], off
	v_addc_co_u32_e32 v3, vcc, 0, v6, vcc
	global_load_dword v6, v[2:3], off offset:224
	v_mov_b32_e32 v5, s2
	v_add_co_u32_e32 v0, vcc, s3, v0
	v_addc_co_u32_e32 v1, vcc, v1, v5, vcc
	global_load_dword v5, v[0:1], off
	global_load_dword v20, v[2:3], off offset:944
	v_mov_b32_e32 v21, s2
	v_add_co_u32_e32 v0, vcc, s3, v0
	v_addc_co_u32_e32 v1, vcc, v1, v21, vcc
	global_load_dword v21, v[0:1], off
	;; [unrolled: 5-line block ×4, first 2 shown]
	global_load_dword v26, v[2:3], off offset:3104
	s_waitcnt vmcnt(21)
	v_lshrrev_b32_e32 v0, 16, v7
	s_waitcnt vmcnt(19)
	v_mul_f16_sdwa v1, v9, v0 dst_sel:DWORD dst_unused:UNUSED_PAD src0_sel:WORD_1 src1_sel:DWORD
	v_mul_f16_sdwa v2, v9, v7 dst_sel:DWORD dst_unused:UNUSED_PAD src0_sel:WORD_1 src1_sel:DWORD
	v_fma_f16 v1, v9, v7, v1
	v_fma_f16 v0, v9, v0, -v2
	v_pack_b32_f16 v0, v1, v0
	v_lshrrev_b32_e32 v1, 16, v8
	s_waitcnt vmcnt(18)
	v_mul_f16_sdwa v2, v10, v1 dst_sel:DWORD dst_unused:UNUSED_PAD src0_sel:WORD_1 src1_sel:DWORD
	v_mul_f16_sdwa v3, v10, v8 dst_sel:DWORD dst_unused:UNUSED_PAD src0_sel:WORD_1 src1_sel:DWORD
	v_fma_f16 v2, v10, v8, v2
	v_fma_f16 v1, v10, v1, -v3
	v_pack_b32_f16 v1, v2, v1
	ds_write2_b32 v31, v0, v1 offset1:180
	s_waitcnt vmcnt(16)
	v_lshrrev_b32_e32 v0, 16, v12
	v_mul_f16_sdwa v1, v11, v0 dst_sel:DWORD dst_unused:UNUSED_PAD src0_sel:WORD_1 src1_sel:DWORD
	v_mul_f16_sdwa v2, v11, v12 dst_sel:DWORD dst_unused:UNUSED_PAD src0_sel:WORD_1 src1_sel:DWORD
	v_fma_f16 v1, v11, v12, v1
	v_fma_f16 v0, v11, v0, -v2
	v_pack_b32_f16 v0, v1, v0
	s_waitcnt vmcnt(15)
	v_lshrrev_b32_e32 v1, 16, v13
	s_waitcnt vmcnt(14)
	v_mul_f16_sdwa v2, v14, v1 dst_sel:DWORD dst_unused:UNUSED_PAD src0_sel:WORD_1 src1_sel:DWORD
	v_mul_f16_sdwa v3, v14, v13 dst_sel:DWORD dst_unused:UNUSED_PAD src0_sel:WORD_1 src1_sel:DWORD
	v_fma_f16 v2, v14, v13, v2
	v_fma_f16 v1, v14, v1, -v3
	v_pack_b32_f16 v1, v2, v1
	v_add_u32_e32 v2, 0x500, v31
	ds_write2_b32 v2, v0, v1 offset0:40 offset1:220
	s_waitcnt vmcnt(13)
	v_lshrrev_b32_e32 v0, 16, v15
	s_waitcnt vmcnt(11)
	v_mul_f16_sdwa v1, v17, v0 dst_sel:DWORD dst_unused:UNUSED_PAD src0_sel:WORD_1 src1_sel:DWORD
	v_mul_f16_sdwa v2, v17, v15 dst_sel:DWORD dst_unused:UNUSED_PAD src0_sel:WORD_1 src1_sel:DWORD
	v_fma_f16 v1, v17, v15, v1
	v_fma_f16 v0, v17, v0, -v2
	v_pack_b32_f16 v0, v1, v0
	v_lshrrev_b32_e32 v1, 16, v16
	s_waitcnt vmcnt(10)
	v_mul_f16_sdwa v2, v18, v1 dst_sel:DWORD dst_unused:UNUSED_PAD src0_sel:WORD_1 src1_sel:DWORD
	v_mul_f16_sdwa v3, v18, v16 dst_sel:DWORD dst_unused:UNUSED_PAD src0_sel:WORD_1 src1_sel:DWORD
	v_fma_f16 v2, v18, v16, v2
	v_fma_f16 v1, v18, v1, -v3
	v_pack_b32_f16 v1, v2, v1
	v_add_u32_e32 v2, 0xb00, v31
	ds_write2_b32 v2, v0, v1 offset0:16 offset1:196
	s_waitcnt vmcnt(9)
	v_lshrrev_b32_e32 v0, 16, v19
	s_waitcnt vmcnt(8)
	v_mul_f16_sdwa v1, v6, v0 dst_sel:DWORD dst_unused:UNUSED_PAD src0_sel:WORD_1 src1_sel:DWORD
	v_mul_f16_sdwa v2, v6, v19 dst_sel:DWORD dst_unused:UNUSED_PAD src0_sel:WORD_1 src1_sel:DWORD
	v_fma_f16 v1, v6, v19, v1
	v_fma_f16 v0, v6, v0, -v2
	v_pack_b32_f16 v0, v1, v0
	s_waitcnt vmcnt(7)
	v_lshrrev_b32_e32 v1, 16, v5
	s_waitcnt vmcnt(6)
	v_mul_f16_sdwa v2, v20, v1 dst_sel:DWORD dst_unused:UNUSED_PAD src0_sel:WORD_1 src1_sel:DWORD
	v_mul_f16_sdwa v3, v20, v5 dst_sel:DWORD dst_unused:UNUSED_PAD src0_sel:WORD_1 src1_sel:DWORD
	v_fma_f16 v2, v20, v5, v2
	v_fma_f16 v1, v20, v1, -v3
	v_pack_b32_f16 v1, v2, v1
	v_add_u32_e32 v2, 0x1000, v31
	ds_write2_b32 v2, v0, v1 offset0:56 offset1:236
	s_waitcnt vmcnt(5)
	v_lshrrev_b32_e32 v0, 16, v21
	s_waitcnt vmcnt(4)
	v_mul_f16_sdwa v1, v23, v0 dst_sel:DWORD dst_unused:UNUSED_PAD src0_sel:WORD_1 src1_sel:DWORD
	v_mul_f16_sdwa v2, v23, v21 dst_sel:DWORD dst_unused:UNUSED_PAD src0_sel:WORD_1 src1_sel:DWORD
	v_fma_f16 v1, v23, v21, v1
	v_fma_f16 v0, v23, v0, -v2
	v_pack_b32_f16 v0, v1, v0
	s_waitcnt vmcnt(3)
	v_lshrrev_b32_e32 v1, 16, v22
	s_waitcnt vmcnt(2)
	v_mul_f16_sdwa v2, v24, v1 dst_sel:DWORD dst_unused:UNUSED_PAD src0_sel:WORD_1 src1_sel:DWORD
	v_mul_f16_sdwa v3, v24, v22 dst_sel:DWORD dst_unused:UNUSED_PAD src0_sel:WORD_1 src1_sel:DWORD
	v_fma_f16 v2, v24, v22, v2
	v_fma_f16 v1, v24, v1, -v3
	v_pack_b32_f16 v1, v2, v1
	v_add_u32_e32 v2, 0x1600, v31
	ds_write2_b32 v2, v0, v1 offset0:32 offset1:212
	s_waitcnt vmcnt(1)
	v_lshrrev_b32_e32 v0, 16, v25
	s_waitcnt vmcnt(0)
	v_mul_f16_sdwa v1, v26, v0 dst_sel:DWORD dst_unused:UNUSED_PAD src0_sel:WORD_1 src1_sel:DWORD
	v_mul_f16_sdwa v2, v26, v25 dst_sel:DWORD dst_unused:UNUSED_PAD src0_sel:WORD_1 src1_sel:DWORD
	v_fma_f16 v1, v26, v25, v1
	v_fma_f16 v0, v26, v0, -v2
	v_pack_b32_f16 v0, v1, v0
	ds_write_b32 v31, v0 offset:7200
.LBB0_3:
	s_or_b64 exec, exec, s[8:9]
	s_load_dwordx2 s[2:3], s[4:5], 0x20
	s_load_dwordx2 s[14:15], s[4:5], 0x8
	v_mov_b32_e32 v0, 0
	s_waitcnt lgkmcnt(0)
	s_barrier
	s_waitcnt lgkmcnt(0)
                                        ; implicit-def: $vgpr11
                                        ; implicit-def: $vgpr3
                                        ; implicit-def: $vgpr6
                                        ; implicit-def: $vgpr8
                                        ; implicit-def: $vgpr10
	s_and_saveexec_b64 s[4:5], s[0:1]
	s_cbranch_execz .LBB0_5
; %bb.4:
	v_add_u32_e32 v2, 0x500, v31
	ds_read2_b32 v[9:10], v2 offset0:40 offset1:220
	v_add_u32_e32 v2, 0xb00, v31
	ds_read2_b32 v[7:8], v2 offset0:16 offset1:196
	;; [unrolled: 2-line block ×3, first 2 shown]
	v_add_u32_e32 v2, 0x1600, v31
	ds_read2_b32 v[0:1], v31 offset1:180
	ds_read2_b32 v[2:3], v2 offset0:32 offset1:212
	ds_read_b32 v11, v31 offset:7200
.LBB0_5:
	s_or_b64 exec, exec, s[4:5]
	s_waitcnt lgkmcnt(0)
	v_pk_add_f16 v12, v1, v11 neg_lo:[0,1] neg_hi:[0,1]
	s_mov_b32 s20, 0xb853
	v_pk_add_f16 v14, v11, v1
	s_movk_i32 s8, 0x3abb
	v_mul_f16_sdwa v24, v12, s20 dst_sel:DWORD dst_unused:UNUSED_PAD src0_sel:WORD_1 src1_sel:DWORD
	v_lshrrev_b32_e32 v29, 16, v14
	v_mul_f16_e32 v28, 0xb853, v12
	v_fma_f16 v13, v14, s8, v24
	v_add_f16_e32 v15, v13, v0
	v_fma_f16 v13, v29, s8, -v28
	v_add_f16_sdwa v16, v13, v0 dst_sel:DWORD dst_unused:UNUSED_PAD src0_sel:DWORD src1_sel:WORD_1
	v_pk_add_f16 v13, v9, v3 neg_lo:[0,1] neg_hi:[0,1]
	s_mov_b32 s22, 0xbb47
	v_pk_add_f16 v18, v3, v9
	s_movk_i32 s10, 0x36a6
	v_mul_f16_sdwa v25, v13, s22 dst_sel:DWORD dst_unused:UNUSED_PAD src0_sel:WORD_1 src1_sel:DWORD
	v_lshrrev_b32_e32 v33, 16, v18
	v_mul_f16_e32 v30, 0xbb47, v13
	v_fma_f16 v17, v18, s10, v25
	v_add_f16_e32 v15, v17, v15
	v_fma_f16 v17, v33, s10, -v30
	v_add_f16_e32 v16, v17, v16
	v_pk_add_f16 v17, v10, v2 neg_lo:[0,1] neg_hi:[0,1]
	s_mov_b32 s9, 0xbbeb
	v_pk_add_f16 v19, v2, v10
	s_mov_b32 s11, 0xb08e
	v_mul_f16_sdwa v26, v17, s9 dst_sel:DWORD dst_unused:UNUSED_PAD src0_sel:WORD_1 src1_sel:DWORD
	v_fma_f16 v20, v19, s11, v26
	v_lshrrev_b32_e32 v37, 16, v19
	v_mul_f16_e32 v36, 0xbbeb, v17
	v_add_f16_e32 v15, v20, v15
	v_fma_f16 v20, v37, s11, -v36
	v_add_f16_e32 v16, v20, v16
	s_mov_b32 s16, 0xba0c
	v_pk_add_f16 v20, v7, v6 neg_lo:[0,1] neg_hi:[0,1]
	s_mov_b32 s17, 0xb93d
	v_pk_add_f16 v21, v6, v7
	v_mul_f16_sdwa v27, v20, s16 dst_sel:DWORD dst_unused:UNUSED_PAD src0_sel:WORD_1 src1_sel:DWORD
	v_fma_f16 v22, v21, s17, v27
	v_lshrrev_b32_e32 v39, 16, v21
	v_mul_f16_e32 v38, 0xba0c, v20
	v_add_f16_e32 v15, v22, v15
	v_fma_f16 v22, v39, s17, -v38
	v_add_f16_e32 v16, v22, v16
	s_mov_b32 s18, 0xb482
	v_pk_add_f16 v22, v8, v5 neg_lo:[0,1] neg_hi:[0,1]
	s_mov_b32 s19, 0xbbad
	v_pk_add_f16 v23, v5, v8
	v_mul_f16_sdwa v35, v22, s18 dst_sel:DWORD dst_unused:UNUSED_PAD src0_sel:WORD_1 src1_sel:DWORD
	v_fma_f16 v34, v23, s19, v35
	v_lshrrev_b32_e32 v41, 16, v23
	v_mul_f16_e32 v40, 0xb482, v22
	v_add_f16_e32 v15, v34, v15
	v_fma_f16 v34, v41, s19, -v40
	v_add_f16_e32 v16, v34, v16
	v_mul_lo_u16_e32 v34, 11, v32
	s_barrier
	s_and_saveexec_b64 s[4:5], s[0:1]
	s_cbranch_execz .LBB0_7
; %bb.6:
	v_mul_f16_sdwa v42, v12, s22 dst_sel:DWORD dst_unused:UNUSED_PAD src0_sel:WORD_1 src1_sel:DWORD
	v_pk_add_f16 v1, v1, v0
	v_fma_f16 v43, v14, s10, v42
	v_mul_f16_sdwa v44, v13, s16 dst_sel:DWORD dst_unused:UNUSED_PAD src0_sel:WORD_1 src1_sel:DWORD
	v_pk_add_f16 v1, v9, v1
	v_add_f16_e32 v43, v43, v0
	v_fma_f16 v45, v18, s17, v44
	s_movk_i32 s21, 0x3482
	v_pk_add_f16 v1, v10, v1
	v_add_f16_e32 v43, v45, v43
	v_mul_f16_sdwa v45, v17, s21 dst_sel:DWORD dst_unused:UNUSED_PAD src0_sel:WORD_1 src1_sel:DWORD
	s_movk_i32 s23, 0x3beb
	v_pk_add_f16 v1, v7, v1
	v_fma_f16 v46, v19, s19, v45
	v_mul_f16_sdwa v9, v20, s23 dst_sel:DWORD dst_unused:UNUSED_PAD src0_sel:WORD_1 src1_sel:DWORD
	v_pk_add_f16 v1, v8, v1
	v_mul_f16_e32 v7, 0xb08e, v29
	v_add_f16_e32 v43, v46, v43
	v_fma_f16 v10, v21, s11, v9
	s_movk_i32 s24, 0x3853
	v_fma_f16 v8, v12, s23, v7
	v_pk_add_f16 v1, v5, v1
	v_mul_f16_e32 v5, 0xbbad, v33
	v_add_f16_e32 v10, v10, v43
	v_mul_f16_sdwa v43, v22, s24 dst_sel:DWORD dst_unused:UNUSED_PAD src0_sel:WORD_1 src1_sel:DWORD
	v_add_f16_sdwa v8, v8, v0 dst_sel:DWORD dst_unused:UNUSED_PAD src0_sel:DWORD src1_sel:WORD_1
	v_pk_add_f16 v1, v6, v1
	v_fma_f16 v6, v13, s18, v5
	v_fma_f16 v46, v23, s8, v43
	v_add_f16_e32 v6, v6, v8
	v_mul_f16_e32 v8, 0x36a6, v37
	v_add_f16_e32 v10, v46, v10
	v_fma_f16 v46, v17, s22, v8
	v_pk_add_f16 v1, v2, v1
	v_mul_f16_e32 v2, 0x3abb, v39
	v_add_f16_e32 v6, v46, v6
	v_pk_add_f16 v1, v3, v1
	v_fma_f16 v3, v20, s24, v2
	v_add_f16_e32 v3, v3, v6
	v_mul_f16_e32 v6, 0xb93d, v41
	s_movk_i32 s22, 0x3a0c
	v_fma_f16 v46, v22, s22, v6
	s_mov_b32 s25, 0x36a6b08e
	v_add_f16_e32 v3, v46, v3
	s_mov_b32 s26, 0xbbebbb47
	s_mov_b32 s27, 0xb93dbbad
	v_pk_mul_f16 v46, v14, s25
	s_mov_b32 s28, 0x3482ba0c
	v_pk_fma_f16 v47, v12, s26, v46 op_sel:[0,0,1] op_sel_hi:[1,1,0]
	v_pk_mul_f16 v49, v18, s27
	v_alignbit_b32 v48, s0, v47, 16
	v_pk_fma_f16 v50, v13, s28, v49 op_sel:[0,0,1] op_sel_hi:[1,1,0]
	v_pk_add_f16 v48, v48, v0
	v_alignbit_b32 v51, s0, v50, 16
	s_mov_b32 s25, 0xbbad36a6
	v_pk_add_f16 v48, v51, v48
	s_mov_b32 s27, 0x3b473482
	v_pk_mul_f16 v51, v19, s25
	v_pk_fma_f16 v52, v17, s27, v51 op_sel:[0,0,1] op_sel_hi:[1,1,0]
	v_alignbit_b32 v53, s0, v52, 16
	v_pk_add_f16 v48, v53, v48
	v_mul_f16_e32 v53, 0xb93d, v29
	v_fma_f16 v7, v12, s9, v7
	v_fma_f16 v54, v12, s22, v53
	s_movk_i32 s22, 0x3b47
	v_add_f16_sdwa v7, v7, v0 dst_sel:DWORD dst_unused:UNUSED_PAD src0_sel:DWORD src1_sel:WORD_1
	v_fma_f16 v5, v13, s21, v5
	v_add_f16_e32 v5, v5, v7
	v_fma_f16 v7, v17, s22, v8
	v_add_f16_e32 v5, v7, v5
	;; [unrolled: 2-line block ×4, first 2 shown]
	v_fma_f16 v5, v14, s10, -v42
	v_add_f16_e32 v5, v5, v0
	v_fma_f16 v6, v18, s17, -v44
	v_add_f16_e32 v5, v6, v5
	;; [unrolled: 2-line block ×5, first 2 shown]
	v_mul_f16_e32 v6, 0x3abb, v29
	v_add_f16_e32 v6, v28, v6
	v_mul_f16_e32 v7, 0x36a6, v33
	v_add_f16_e32 v7, v30, v7
	v_add_f16_sdwa v6, v6, v0 dst_sel:DWORD dst_unused:UNUSED_PAD src0_sel:DWORD src1_sel:WORD_1
	v_add_f16_e32 v6, v7, v6
	v_mul_f16_e32 v7, 0xb08e, v37
	v_mul_f16_e32 v55, 0xb08e, v33
	v_add_f16_e32 v7, v36, v7
	v_add_f16_sdwa v54, v54, v0 dst_sel:DWORD dst_unused:UNUSED_PAD src0_sel:DWORD src1_sel:WORD_1
	v_fma_f16 v56, v13, s9, v55
	v_add_f16_e32 v6, v7, v6
	v_mul_f16_e32 v7, 0xb93d, v39
	v_add_f16_e32 v54, v56, v54
	v_mul_f16_e32 v56, 0x3abb, v37
	;; [unrolled: 2-line block ×3, first 2 shown]
	v_fma_f16 v57, v17, s24, v56
	v_add_f16_e32 v6, v7, v6
	v_mul_f16_e32 v7, 0x36a6, v18
	v_mul_f16_e32 v9, 0xbbad, v41
	v_sub_f16_e32 v8, v8, v24
	v_add_f16_e32 v54, v57, v54
	v_mul_f16_sdwa v57, v12, s16 dst_sel:DWORD dst_unused:UNUSED_PAD src0_sel:WORD_1 src1_sel:DWORD
	v_add_f16_e32 v9, v40, v9
	v_mul_f16_e32 v28, 0xb08e, v19
	v_sub_f16_e32 v7, v7, v25
	v_add_f16_e32 v8, v8, v0
	v_fma_f16 v58, v14, s17, v57
	v_mul_f16_sdwa v59, v13, s23 dst_sel:DWORD dst_unused:UNUSED_PAD src0_sel:WORD_1 src1_sel:DWORD
	v_fma_f16 v53, v12, s16, v53
	v_add_f16_e32 v6, v9, v6
	v_mul_f16_e32 v9, 0xb93d, v21
	v_add_f16_e32 v7, v7, v8
	v_sub_f16_e32 v26, v28, v26
	v_add_f16_e32 v58, v58, v0
	v_fma_f16 v60, v18, s11, v59
	v_add_f16_sdwa v53, v53, v0 dst_sel:DWORD dst_unused:UNUSED_PAD src0_sel:DWORD src1_sel:WORD_1
	v_fma_f16 v55, v13, s23, v55
	v_mul_f16_e32 v24, 0xbbad, v23
	v_add_f16_e32 v7, v26, v7
	v_sub_f16_e32 v9, v9, v27
	v_add_f16_e32 v58, v60, v58
	v_mul_f16_sdwa v60, v17, s20 dst_sel:DWORD dst_unused:UNUSED_PAD src0_sel:WORD_1 src1_sel:DWORD
	v_add_f16_e32 v53, v55, v53
	v_fma_f16 v55, v17, s20, v56
	s_mov_b32 s20, 0xb08e3abb
	v_add_f16_e32 v7, v9, v7
	v_sub_f16_e32 v24, v24, v35
	v_pk_mul_f16 v8, v21, s20
	s_mov_b32 s20, 0xb8533beb
	v_add_f16_e32 v7, v24, v7
	v_pk_fma_f16 v29, v12, s26, v46 op_sel:[0,0,1] op_sel_hi:[1,1,0] neg_lo:[1,0,0] neg_hi:[1,0,0]
	v_pk_fma_f16 v28, v20, s20, v8 op_sel:[0,0,1] op_sel_hi:[1,1,0] neg_lo:[1,0,0] neg_hi:[1,0,0]
	v_pk_fma_f16 v8, v20, s20, v8 op_sel:[0,0,1] op_sel_hi:[1,1,0]
	v_pk_add_f16 v1, v11, v1
	v_lshlrev_b32_e32 v11, 2, v34
	v_pack_b32_f16 v6, v7, v6
	s_mov_b32 s20, 0xffff
	v_pk_fma_f16 v30, v13, s28, v49 op_sel:[0,0,1] op_sel_hi:[1,1,0] neg_lo:[1,0,0] neg_hi:[1,0,0]
	ds_write2_b32 v11, v1, v6 offset1:1
	v_bfi_b32 v1, s20, v47, v29
	v_fma_f16 v61, v19, s8, v60
	v_pk_fma_f16 v33, v17, s27, v51 op_sel:[0,0,1] op_sel_hi:[1,1,0] neg_lo:[1,0,0] neg_hi:[1,0,0]
	v_pk_add_f16 v1, v1, v0 op_sel:[0,1] op_sel_hi:[1,0]
	v_bfi_b32 v6, s20, v50, v30
	v_add_f16_e32 v58, v61, v58
	v_mul_f16_sdwa v61, v20, s18 dst_sel:DWORD dst_unused:UNUSED_PAD src0_sel:WORD_1 src1_sel:DWORD
	v_fma_f16 v57, v14, s17, -v57
	s_mov_b32 s23, 0x3abbb93d
	v_pk_add_f16 v1, v6, v1
	v_bfi_b32 v6, s20, v52, v33
	v_fma_f16 v62, v21, s19, v61
	v_add_f16_e32 v53, v55, v53
	v_mul_f16_e32 v55, 0xbbad, v39
	v_add_f16_e32 v57, v57, v0
	v_fma_f16 v59, v18, s11, -v59
	v_pk_mul_f16 v26, v23, s23
	s_mov_b32 s23, 0xba0c3853
	v_pk_add_f16 v1, v6, v1
	v_bfi_b32 v6, s20, v8, v28
	v_add_f16_e32 v58, v62, v58
	v_mul_f16_sdwa v62, v22, s22 dst_sel:DWORD dst_unused:UNUSED_PAD src0_sel:WORD_1 src1_sel:DWORD
	v_fma_f16 v56, v20, s18, v55
	v_add_f16_e32 v57, v59, v57
	v_fma_f16 v59, v19, s8, -v60
	v_pk_fma_f16 v9, v22, s23, v26 op_sel:[0,0,1] op_sel_hi:[1,1,0] neg_lo:[1,0,0] neg_hi:[1,0,0]
	v_pk_add_f16 v1, v6, v1
	v_pk_fma_f16 v6, v22, s23, v26 op_sel:[0,0,1] op_sel_hi:[1,1,0]
	v_fma_f16 v63, v23, s10, v62
	v_add_f16_e32 v53, v56, v53
	v_mul_f16_e32 v56, 0x36a6, v41
	v_add_f16_e32 v57, v59, v57
	v_fma_f16 v59, v21, s19, -v61
	v_bfi_b32 v6, s20, v6, v9
	v_add_f16_e32 v58, v63, v58
	v_fma_f16 v63, v22, s22, v56
	v_add_f16_e32 v57, v59, v57
	v_fma_f16 v59, v23, s10, -v62
	v_pk_add_f16 v1, v6, v1
	v_add_f16_e32 v53, v63, v53
	v_add_f16_e32 v57, v59, v57
	v_add_f16_sdwa v35, v29, v0 dst_sel:DWORD dst_unused:UNUSED_PAD src0_sel:DWORD src1_sel:WORD_1
	v_alignbit_b32 v2, v2, v1, 16
	v_pack_b32_f16 v1, v5, v1
	v_add_f16_e32 v35, v30, v35
	ds_write2_b32 v11, v1, v2 offset0:2 offset1:3
	v_pack_b32_f16 v1, v57, v53
	v_add_f16_e32 v35, v33, v35
	ds_write_b32 v11, v1 offset:16
	v_pk_mul_f16 v1, v14, s19 op_sel_hi:[1,0]
	v_alignbit_b32 v25, s0, v0, 16
	v_add_f16_e32 v35, v28, v35
	v_pk_fma_f16 v2, v12, s18, v1 op_sel:[0,0,1] op_sel_hi:[1,0,0] neg_lo:[1,0,0] neg_hi:[1,0,0]
	v_pk_mul_f16 v6, v18, s8 op_sel_hi:[1,0]
	v_add_f16_e32 v35, v9, v35
	v_pk_add_f16 v5, v2, v25
	v_pk_fma_f16 v7, v13, s24, v6 op_sel:[0,0,1] op_sel_hi:[1,0,0] neg_lo:[1,0,0] neg_hi:[1,0,0]
	v_pk_mul_f16 v9, v19, s17 op_sel_hi:[1,0]
	v_pk_fma_f16 v1, v12, s18, v1 op_sel:[0,0,1] op_sel_hi:[1,0,0]
	v_alignbit_b32 v2, s0, v2, 16
	v_pk_fma_f16 v14, v17, s16, v9 op_sel:[0,0,1] op_sel_hi:[1,0,0] neg_lo:[1,0,0] neg_hi:[1,0,0]
	v_pk_mul_f16 v18, v21, s10 op_sel_hi:[1,0]
	v_pk_add_f16 v1, v1, v0 op_sel:[0,1] op_sel_hi:[1,0]
	v_pk_fma_f16 v6, v13, s24, v6 op_sel:[0,0,1] op_sel_hi:[1,0,0]
	v_pk_add_f16 v0, v2, v0
	v_alignbit_b32 v2, s0, v7, 16
	v_pk_add_f16 v5, v7, v5
	v_pk_fma_f16 v19, v20, s22, v18 op_sel:[0,0,1] op_sel_hi:[1,0,0] neg_lo:[1,0,0] neg_hi:[1,0,0]
	v_pk_mul_f16 v21, v23, s11 op_sel_hi:[1,0]
	v_pk_add_f16 v1, v6, v1
	v_pk_fma_f16 v6, v17, s16, v9 op_sel:[0,0,1] op_sel_hi:[1,0,0]
	v_pk_add_f16 v0, v2, v0
	v_alignbit_b32 v2, s0, v14, 16
	v_pk_add_f16 v5, v14, v5
	v_pk_fma_f16 v23, v22, s9, v21 op_sel:[0,0,1] op_sel_hi:[1,0,0] neg_lo:[1,0,0] neg_hi:[1,0,0]
	v_pk_add_f16 v1, v6, v1
	v_pk_fma_f16 v6, v20, s22, v18 op_sel:[0,0,1] op_sel_hi:[1,0,0]
	v_pk_add_f16 v0, v2, v0
	v_alignbit_b32 v2, s0, v19, 16
	v_pk_add_f16 v5, v19, v5
	v_pk_add_f16 v1, v6, v1
	v_pk_fma_f16 v6, v22, s9, v21 op_sel:[0,0,1] op_sel_hi:[1,0,0]
	v_pk_add_f16 v0, v2, v0
	v_alignbit_b32 v2, s0, v23, 16
	v_pk_add_f16 v5, v23, v5
	v_pk_add_f16 v1, v6, v1
	;; [unrolled: 1-line block ×3, first 2 shown]
	v_pk_mul_f16 v27, v22, s23
	v_fma_f16 v36, v20, s21, v55
	v_alignbit_b32 v2, v5, v1, 16
	v_pack_b32_f16 v0, v0, v1
	ds_write2_b32 v11, v0, v2 offset0:5 offset1:6
	v_pack_b32_f16 v0, v36, v26
	v_bfi_b32 v1, s20, v54, v27
	v_mul_f16_e32 v24, 0x3b47, v22
	v_pk_add_f16 v0, v0, v1
	v_lshlrev_b32_e32 v1, 16, v48
	v_pk_add_f16 v2, v56, v24 neg_lo:[0,1] neg_hi:[0,1]
	v_pk_add_f16 v1, v8, v1
	v_bfi_b32 v1, s20, v2, v1
	v_pk_add_f16 v0, v1, v0
	v_alignbit_b32 v1, v3, v0, 16
	v_pack_b32_f16 v0, v58, v0
	s_mov_b32 s8, 0x5040100
	ds_write2_b32 v11, v0, v1 offset0:7 offset1:8
	v_pack_b32_f16 v0, v10, v35
	v_perm_b32 v1, v16, v15, s8
	ds_write2_b32 v11, v0, v1 offset0:9 offset1:10
.LBB0_7:
	s_or_b64 exec, exec, s[4:5]
	s_load_dwordx4 s[8:11], s[2:3], 0x0
	s_movk_i32 s2, 0x18c
	v_add_co_u32_e32 v17, vcc, s2, v32
	s_movk_i32 s2, 0x318
	v_add_co_u32_e32 v0, vcc, s2, v32
	s_movk_i32 s2, 0x75
	v_mul_lo_u16_sdwa v1, v32, s2 dst_sel:DWORD dst_unused:UNUSED_PAD src0_sel:BYTE_0 src1_sel:DWORD
	v_sub_u16_sdwa v2, v32, v1 dst_sel:DWORD dst_unused:UNUSED_PAD src0_sel:DWORD src1_sel:BYTE_1
	v_lshrrev_b16_e32 v2, 1, v2
	v_and_b32_e32 v2, 0x7f, v2
	v_add_u16_sdwa v1, v2, v1 dst_sel:DWORD dst_unused:UNUSED_PAD src0_sel:DWORD src1_sel:BYTE_1
	v_lshrrev_b16_e32 v14, 3, v1
	s_mov_b32 s2, 0xba2f
	v_add_co_u32_e32 v18, vcc, 0xc6, v32
	v_mul_lo_u16_e32 v1, 11, v14
	v_mul_u32_u24_sdwa v7, v17, s2 dst_sel:DWORD dst_unused:UNUSED_PAD src0_sel:WORD_0 src1_sel:DWORD
	v_sub_u16_e32 v1, v32, v1
	v_mul_u32_u24_sdwa v8, v18, s2 dst_sel:DWORD dst_unused:UNUSED_PAD src0_sel:WORD_0 src1_sel:DWORD
	v_lshrrev_b32_e32 v25, 19, v7
	v_and_b32_e32 v21, 0xff, v1
	v_lshrrev_b32_e32 v22, 19, v8
	v_mul_lo_u16_e32 v3, 11, v25
	v_lshlrev_b32_e32 v1, 2, v21
	v_mul_lo_u16_e32 v2, 11, v22
	v_sub_u16_e32 v26, v17, v3
	v_add_u16_e32 v23, 0x252, v32
	s_waitcnt lgkmcnt(0)
	s_barrier
	v_sub_u16_e32 v24, v18, v2
	v_lshlrev_b32_e32 v3, 2, v26
	v_mul_u32_u24_e32 v11, 0xba2f, v23
	global_load_dword v41, v1, s[14:15]
	global_load_dword v39, v3, s[14:15]
	v_lshlrev_b32_e32 v2, 2, v24
	v_lshrrev_b32_e32 v27, 19, v11
	v_mul_lo_u16_e32 v5, 11, v27
	global_load_dword v40, v2, s[14:15]
	v_sub_u16_e32 v28, v23, v5
	v_mul_u32_u24_sdwa v6, v0, s2 dst_sel:DWORD dst_unused:UNUSED_PAD src0_sel:WORD_0 src1_sel:DWORD
	v_lshlrev_b32_e32 v5, 2, v28
	global_load_dword v38, v5, s[14:15]
	v_lshrrev_b32_e32 v29, 19, v6
	v_mul_lo_u16_e32 v1, 11, v29
	v_sub_u16_e32 v30, v0, v1
	v_lshlrev_b32_e32 v0, 2, v30
	global_load_dword v37, v0, s[14:15]
	v_mov_b32_e32 v0, 2
	v_lshlrev_b32_sdwa v33, v0, v32 dst_sel:DWORD dst_unused:UNUSED_PAD src0_sel:DWORD src1_sel:WORD_0
	ds_read2_b32 v[0:1], v33 offset1:198
	v_add_u32_e32 v2, 0xc00, v33
	v_add_u32_e32 v5, 0x1200, v33
	;; [unrolled: 1-line block ×4, first 2 shown]
	ds_read2_b32 v[2:3], v2 offset0:24 offset1:222
	ds_read2_b32 v[5:6], v5 offset0:36 offset1:234
	;; [unrolled: 1-line block ×4, first 2 shown]
	s_waitcnt lgkmcnt(4)
	v_lshrrev_b32_e32 v19, 16, v0
	s_waitcnt lgkmcnt(3)
	v_lshrrev_b32_e32 v35, 16, v3
	;; [unrolled: 2-line block ×3, first 2 shown]
	v_lshrrev_b32_e32 v43, 16, v6
	s_waitcnt lgkmcnt(1)
	v_lshrrev_b32_e32 v42, 16, v9
	v_lshrrev_b32_e32 v20, 16, v1
	v_mul_u32_u24_e32 v14, 22, v14
	s_waitcnt lgkmcnt(0)
	v_lshrrev_b32_e32 v45, 16, v12
	s_waitcnt vmcnt(0)
	s_barrier
	v_lshrrev_b32_e32 v44, 16, v10
	v_lshrrev_b32_e32 v47, 16, v13
	;; [unrolled: 1-line block ×3, first 2 shown]
	s_movk_i32 s16, 0x42
	v_cmp_gt_u16_e64 s[2:3], s16, v32
	v_mul_f16_sdwa v48, v35, v41 dst_sel:DWORD dst_unused:UNUSED_PAD src0_sel:DWORD src1_sel:WORD_1
	v_mul_f16_sdwa v49, v3, v41 dst_sel:DWORD dst_unused:UNUSED_PAD src0_sel:DWORD src1_sel:WORD_1
	;; [unrolled: 1-line block ×3, first 2 shown]
	v_fma_f16 v3, v3, v41, -v48
	v_fma_f16 v35, v35, v41, v49
	v_mul_f16_sdwa v50, v36, v40 dst_sel:DWORD dst_unused:UNUSED_PAD src0_sel:DWORD src1_sel:WORD_1
	v_mul_f16_sdwa v51, v5, v40 dst_sel:DWORD dst_unused:UNUSED_PAD src0_sel:DWORD src1_sel:WORD_1
	;; [unrolled: 1-line block ×3, first 2 shown]
	v_fma_f16 v43, v43, v39, v53
	v_sub_f16_e32 v3, v0, v3
	v_sub_f16_e32 v35, v19, v35
	v_fma_f16 v5, v5, v40, -v50
	v_fma_f16 v36, v36, v40, v51
	v_fma_f16 v0, v0, 2.0, -v3
	v_fma_f16 v48, v19, 2.0, -v35
	v_sub_f16_e32 v50, v42, v43
	v_sub_f16_e32 v5, v1, v5
	;; [unrolled: 1-line block ×3, first 2 shown]
	v_fma_f16 v51, v42, 2.0, -v50
	v_add_lshl_u32 v42, v14, v21, 2
	v_pack_b32_f16 v0, v0, v48
	v_pack_b32_f16 v3, v3, v35
	v_mul_f16_sdwa v55, v12, v38 dst_sel:DWORD dst_unused:UNUSED_PAD src0_sel:DWORD src1_sel:WORD_1
	v_fma_f16 v6, v6, v39, -v52
	v_fma_f16 v1, v1, 2.0, -v5
	v_fma_f16 v49, v20, 2.0, -v36
	ds_write2_b32 v42, v0, v3 offset1:11
	v_mad_legacy_u16 v0, v22, 22, v24
	v_mul_f16_sdwa v54, v45, v38 dst_sel:DWORD dst_unused:UNUSED_PAD src0_sel:DWORD src1_sel:WORD_1
	v_fma_f16 v45, v45, v38, v55
	v_sub_f16_e32 v6, v9, v6
	v_lshlrev_b32_e32 v43, 2, v0
	v_pack_b32_f16 v0, v1, v49
	v_pack_b32_f16 v1, v5, v36
	v_fma_f16 v12, v12, v38, -v54
	v_fma_f16 v9, v9, 2.0, -v6
	v_sub_f16_e32 v52, v44, v45
	ds_write2_b32 v43, v0, v1 offset1:11
	v_mad_legacy_u16 v0, v25, 22, v26
	v_mul_f16_sdwa v56, v47, v37 dst_sel:DWORD dst_unused:UNUSED_PAD src0_sel:DWORD src1_sel:WORD_1
	v_mul_f16_sdwa v57, v13, v37 dst_sel:DWORD dst_unused:UNUSED_PAD src0_sel:DWORD src1_sel:WORD_1
	v_sub_f16_e32 v12, v10, v12
	v_fma_f16 v53, v44, 2.0, -v52
	v_lshlrev_b32_e32 v44, 2, v0
	v_pack_b32_f16 v0, v9, v51
	v_pack_b32_f16 v1, v6, v50
	v_fma_f16 v13, v13, v37, -v56
	v_fma_f16 v47, v47, v37, v57
	v_fma_f16 v10, v10, 2.0, -v12
	ds_write2_b32 v44, v0, v1 offset1:11
	v_mad_legacy_u16 v0, v27, 22, v28
	v_sub_f16_e32 v19, v2, v13
	v_sub_f16_e32 v20, v46, v47
	v_lshlrev_b32_e32 v45, 2, v0
	v_pack_b32_f16 v0, v10, v53
	v_pack_b32_f16 v1, v12, v52
	v_fma_f16 v2, v2, 2.0, -v19
	v_fma_f16 v13, v46, 2.0, -v20
	ds_write2_b32 v45, v0, v1 offset1:11
	v_mad_legacy_u16 v0, v29, 22, v30
	v_lshlrev_b32_e32 v46, 2, v0
	v_pack_b32_f16 v0, v2, v13
	v_pack_b32_f16 v1, v19, v20
	v_add_u32_e32 v2, 0xa00, v33
	v_add_u32_e32 v5, 0x1400, v33
	ds_write2_b32 v46, v0, v1 offset1:11
	s_waitcnt lgkmcnt(0)
	s_barrier
	ds_read2_b32 v[0:1], v33 offset1:198
	ds_read2_b32 v[2:3], v2 offset0:20 offset1:218
	ds_read2_b32 v[13:14], v5 offset0:40 offset1:238
	ds_read_b32 v21, v33 offset:1584
	ds_read_b32 v24, v33 offset:4224
	;; [unrolled: 1-line block ×3, first 2 shown]
                                        ; implicit-def: $vgpr25
                                        ; implicit-def: $vgpr26
	s_and_saveexec_b64 s[4:5], s[2:3]
	s_cbranch_execz .LBB0_9
; %bb.8:
	ds_read_b32 v19, v33 offset:2376
	ds_read_b32 v15, v33 offset:5016
	ds_read_b32 v25, v33 offset:7656
	s_waitcnt lgkmcnt(2)
	v_lshrrev_b32_e32 v20, 16, v19
	s_waitcnt lgkmcnt(1)
	v_lshrrev_b32_e32 v16, 16, v15
	;; [unrolled: 2-line block ×3, first 2 shown]
.LBB0_9:
	s_or_b64 exec, exec, s[4:5]
	v_lshrrev_b32_e32 v49, 20, v8
	v_lshrrev_b16_e32 v5, 1, v32
	v_mul_lo_u16_e32 v8, 22, v49
	v_and_b32_e32 v5, 0x7f, v5
	v_sub_u16_e32 v50, v18, v8
	v_lshrrev_b32_e32 v51, 20, v7
	v_mul_lo_u16_e32 v5, 0xbb, v5
	v_lshlrev_b16_e32 v8, 3, v50
	v_mul_lo_u16_e32 v7, 22, v51
	v_lshrrev_b16_e32 v47, 11, v5
	v_mov_b32_e32 v12, s15
	v_add_co_u32_e32 v27, vcc, s14, v8
	v_sub_u16_e32 v52, v17, v7
	v_lshrrev_b32_e32 v35, 20, v11
	v_mul_lo_u16_e32 v5, 22, v47
	v_addc_co_u32_e32 v28, vcc, 0, v12, vcc
	v_lshlrev_b16_e32 v7, 3, v52
	v_mul_lo_u16_e32 v11, 22, v35
	v_sub_u16_e32 v5, v32, v5
	v_add_co_u32_e32 v29, vcc, s14, v7
	v_sub_u16_e32 v36, v23, v11
	v_and_b32_e32 v48, 0xff, v5
	v_addc_co_u32_e32 v30, vcc, 0, v12, vcc
	v_lshlrev_b16_e32 v11, 3, v36
	v_lshlrev_b32_e32 v5, 3, v48
	v_add_co_u32_e32 v11, vcc, s14, v11
	global_load_dwordx2 v[5:6], v5, s[14:15] offset:44
	v_addc_co_u32_e32 v12, vcc, 0, v12, vcc
	global_load_dwordx2 v[9:10], v[27:28], off offset:44
	global_load_dwordx2 v[7:8], v[29:30], off offset:44
	s_waitcnt lgkmcnt(4)
	v_lshrrev_b32_e32 v28, 16, v2
	global_load_dwordx2 v[11:12], v[11:12], off offset:44
	s_waitcnt lgkmcnt(3)
	v_lshrrev_b32_e32 v29, 16, v13
	v_lshrrev_b32_e32 v27, 16, v0
	;; [unrolled: 1-line block ×4, first 2 shown]
	s_movk_i32 s4, 0x3aee
	s_mov_b32 s5, 0xbaee
	v_lshrrev_b32_e32 v30, 16, v1
	s_waitcnt lgkmcnt(1)
	v_lshrrev_b32_e32 v56, 16, v24
	s_waitcnt lgkmcnt(0)
	v_lshrrev_b32_e32 v57, 16, v22
	v_lshrrev_b32_e32 v55, 16, v21
	s_waitcnt vmcnt(0)
	s_barrier
	v_mul_f16_sdwa v58, v28, v5 dst_sel:DWORD dst_unused:UNUSED_PAD src0_sel:DWORD src1_sel:WORD_1
	v_mul_f16_sdwa v59, v2, v5 dst_sel:DWORD dst_unused:UNUSED_PAD src0_sel:DWORD src1_sel:WORD_1
	;; [unrolled: 1-line block ×4, first 2 shown]
	v_fma_f16 v2, v2, v5, -v58
	v_mul_f16_sdwa v72, v26, v12 dst_sel:DWORD dst_unused:UNUSED_PAD src0_sel:DWORD src1_sel:WORD_1
	v_mul_f16_sdwa v73, v25, v12 dst_sel:DWORD dst_unused:UNUSED_PAD src0_sel:DWORD src1_sel:WORD_1
	v_fma_f16 v28, v28, v5, v59
	v_fma_f16 v13, v13, v6, -v60
	v_fma_f16 v29, v29, v6, v61
	v_mul_f16_sdwa v62, v53, v9 dst_sel:DWORD dst_unused:UNUSED_PAD src0_sel:DWORD src1_sel:WORD_1
	v_fma_f16 v58, v25, v12, -v72
	v_fma_f16 v59, v26, v12, v73
	v_add_f16_e32 v25, v0, v2
	v_add_f16_e32 v26, v2, v13
	v_sub_f16_e32 v60, v28, v29
	v_add_f16_e32 v61, v27, v28
	v_add_f16_e32 v28, v28, v29
	v_mul_f16_sdwa v63, v3, v9 dst_sel:DWORD dst_unused:UNUSED_PAD src0_sel:DWORD src1_sel:WORD_1
	v_mul_f16_sdwa v64, v54, v10 dst_sel:DWORD dst_unused:UNUSED_PAD src0_sel:DWORD src1_sel:WORD_1
	v_fma_f16 v3, v3, v9, -v62
	v_sub_f16_e32 v2, v2, v13
	v_add_f16_e32 v13, v25, v13
	v_fma_f16 v0, v26, -0.5, v0
	v_fma_f16 v25, v28, -0.5, v27
	v_mul_f16_sdwa v65, v14, v10 dst_sel:DWORD dst_unused:UNUSED_PAD src0_sel:DWORD src1_sel:WORD_1
	v_fma_f16 v14, v14, v10, -v64
	v_fma_f16 v62, v60, s4, v0
	v_fma_f16 v0, v60, s5, v0
	v_fma_f16 v60, v2, s5, v25
	v_fma_f16 v2, v2, s4, v25
	v_add_f16_e32 v25, v1, v3
	v_fma_f16 v53, v53, v9, v63
	v_fma_f16 v54, v54, v10, v65
	v_add_f16_e32 v63, v25, v14
	v_add_f16_e32 v25, v3, v14
	v_fma_f16 v1, v25, -0.5, v1
	v_sub_f16_e32 v25, v53, v54
	v_fma_f16 v64, v25, s4, v1
	v_fma_f16 v1, v25, s5, v1
	v_add_f16_e32 v25, v30, v53
	v_mul_f16_sdwa v66, v56, v7 dst_sel:DWORD dst_unused:UNUSED_PAD src0_sel:DWORD src1_sel:WORD_1
	v_add_f16_e32 v65, v25, v54
	v_add_f16_e32 v25, v53, v54
	v_mul_f16_sdwa v67, v24, v7 dst_sel:DWORD dst_unused:UNUSED_PAD src0_sel:DWORD src1_sel:WORD_1
	v_mul_f16_sdwa v68, v57, v8 dst_sel:DWORD dst_unused:UNUSED_PAD src0_sel:DWORD src1_sel:WORD_1
	v_fma_f16 v24, v24, v7, -v66
	v_fma_f16 v25, v25, -0.5, v30
	v_sub_f16_e32 v3, v3, v14
	v_mul_f16_sdwa v69, v22, v8 dst_sel:DWORD dst_unused:UNUSED_PAD src0_sel:DWORD src1_sel:WORD_1
	v_fma_f16 v22, v22, v8, -v68
	v_fma_f16 v14, v3, s5, v25
	v_fma_f16 v3, v3, s4, v25
	v_add_f16_e32 v25, v21, v24
	v_fma_f16 v56, v56, v7, v67
	v_fma_f16 v57, v57, v8, v69
	v_add_f16_e32 v30, v25, v22
	v_add_f16_e32 v25, v24, v22
	v_fma_f16 v21, v25, -0.5, v21
	v_sub_f16_e32 v25, v56, v57
	v_fma_f16 v53, v25, s4, v21
	v_fma_f16 v21, v25, s5, v21
	v_add_f16_e32 v25, v55, v56
	v_mul_f16_sdwa v70, v16, v11 dst_sel:DWORD dst_unused:UNUSED_PAD src0_sel:DWORD src1_sel:WORD_1
	v_add_f16_e32 v54, v25, v57
	v_add_f16_e32 v25, v56, v57
	v_mul_f16_sdwa v71, v15, v11 dst_sel:DWORD dst_unused:UNUSED_PAD src0_sel:DWORD src1_sel:WORD_1
	v_fma_f16 v15, v15, v11, -v70
	v_fma_f16 v25, v25, -0.5, v55
	v_sub_f16_e32 v22, v24, v22
	v_fma_f16 v16, v16, v11, v71
	v_fma_f16 v55, v22, s5, v25
	;; [unrolled: 1-line block ×3, first 2 shown]
	v_add_f16_e32 v25, v15, v58
	v_add_f16_e32 v24, v19, v15
	v_fma_f16 v19, v25, -0.5, v19
	v_sub_f16_e32 v25, v16, v59
	v_fma_f16 v26, v25, s4, v19
	v_fma_f16 v27, v25, s5, v19
	v_add_f16_e32 v19, v20, v16
	v_add_f16_e32 v16, v16, v59
	v_fma_f16 v16, v16, -0.5, v20
	v_sub_f16_e32 v15, v15, v58
	v_add_f16_e32 v61, v61, v29
	v_fma_f16 v28, v15, s5, v16
	v_fma_f16 v29, v15, s4, v16
	v_mul_u32_u24_e32 v15, 0x42, v47
	v_add_lshl_u32 v47, v15, v48, 2
	v_pack_b32_f16 v0, v0, v2
	ds_write_b32 v47, v0 offset:176
	v_mad_legacy_u16 v0, v49, s16, v50
	v_pack_b32_f16 v13, v13, v61
	v_pack_b32_f16 v15, v62, v60
	v_lshlrev_b32_e32 v48, 2, v0
	v_pack_b32_f16 v0, v63, v65
	v_pack_b32_f16 v2, v64, v14
	ds_write2_b32 v47, v13, v15 offset1:22
	ds_write2_b32 v48, v0, v2 offset1:22
	v_pack_b32_f16 v0, v1, v3
	ds_write_b32 v48, v0 offset:176
	v_mad_legacy_u16 v0, v51, s16, v52
	v_lshlrev_b32_e32 v49, 2, v0
	v_pack_b32_f16 v0, v30, v54
	v_pack_b32_f16 v1, v53, v55
	v_add_f16_e32 v24, v24, v58
	v_add_f16_e32 v25, v19, v59
	ds_write2_b32 v49, v0, v1 offset1:22
	v_pack_b32_f16 v0, v21, v22
	ds_write_b32 v49, v0 offset:176
	s_and_saveexec_b64 s[4:5], s[2:3]
	s_cbranch_execz .LBB0_11
; %bb.10:
	v_mul_u32_u24_e32 v0, 0xba2f, v23
	v_lshrrev_b32_e32 v0, 20, v0
	v_mad_legacy_u16 v0, v0, s16, v36
	s_mov_b32 s16, 0x5040100
	v_lshlrev_b32_e32 v0, 2, v0
	v_perm_b32 v1, v25, v24, s16
	v_perm_b32 v2, v28, v26, s16
	ds_write2_b32 v0, v1, v2 offset1:22
	v_perm_b32 v1, v29, v27, s16
	ds_write_b32 v0, v1 offset:176
.LBB0_11:
	s_or_b64 exec, exec, s[4:5]
	v_add_u32_e32 v2, 0xa00, v33
	v_add_u32_e32 v13, 0x1400, v33
	s_waitcnt lgkmcnt(0)
	s_barrier
	ds_read2_b32 v[0:1], v33 offset1:198
	ds_read2_b32 v[2:3], v2 offset0:20 offset1:218
	ds_read2_b32 v[21:22], v13 offset0:40 offset1:238
	ds_read_b32 v30, v33 offset:1584
	ds_read_b32 v51, v33 offset:4224
	;; [unrolled: 1-line block ×3, first 2 shown]
	s_and_saveexec_b64 s[4:5], s[2:3]
	s_cbranch_execz .LBB0_13
; %bb.12:
	ds_read_b32 v24, v33 offset:2376
	ds_read_b32 v26, v33 offset:5016
	ds_read_b32 v27, v33 offset:7656
	s_waitcnt lgkmcnt(2)
	v_lshrrev_b32_e32 v25, 16, v24
	s_waitcnt lgkmcnt(1)
	v_lshrrev_b32_e32 v28, 16, v26
	;; [unrolled: 2-line block ×3, first 2 shown]
.LBB0_13:
	s_or_b64 exec, exec, s[4:5]
	s_movk_i32 s4, 0xf9
	v_mul_lo_u16_sdwa v13, v32, s4 dst_sel:DWORD dst_unused:UNUSED_PAD src0_sel:BYTE_0 src1_sel:DWORD
	v_lshrrev_b16_e32 v54, 14, v13
	v_mul_lo_u16_e32 v13, 0x42, v54
	v_sub_u16_e32 v13, v32, v13
	s_mov_b32 s4, 0xf83f
	v_and_b32_e32 v55, 0xff, v13
	v_mul_u32_u24_sdwa v13, v18, s4 dst_sel:DWORD dst_unused:UNUSED_PAD src0_sel:WORD_0 src1_sel:DWORD
	v_lshrrev_b32_e32 v57, 22, v13
	v_mul_lo_u16_e32 v13, 0x42, v57
	v_mul_u32_u24_sdwa v15, v17, s4 dst_sel:DWORD dst_unused:UNUSED_PAD src0_sel:WORD_0 src1_sel:DWORD
	v_sub_u16_e32 v58, v18, v13
	v_lshrrev_b32_e32 v63, 22, v15
	v_lshlrev_b16_e32 v13, 3, v58
	v_mul_lo_u16_e32 v15, 0x42, v63
	v_mov_b32_e32 v59, s15
	v_add_co_u32_e32 v13, vcc, s14, v13
	v_sub_u16_e32 v64, v17, v15
	v_addc_co_u32_e32 v14, vcc, 0, v59, vcc
	v_lshlrev_b16_e32 v15, 3, v64
	v_lshlrev_b32_e32 v56, 3, v55
	v_add_co_u32_e32 v52, vcc, s14, v15
	v_addc_co_u32_e32 v53, vcc, 0, v59, vcc
	global_load_dwordx2 v[19:20], v56, s[14:15] offset:220
	global_load_dwordx2 v[17:18], v[13:14], off offset:220
	global_load_dwordx2 v[15:16], v[52:53], off offset:220
	v_mul_u32_u24_e32 v13, 0xf83f, v23
	v_lshrrev_b32_e32 v13, 22, v13
	v_mul_lo_u16_e32 v13, 0x42, v13
	v_sub_u16_e32 v23, v23, v13
	v_lshlrev_b16_e32 v13, 3, v23
	v_add_co_u32_e32 v13, vcc, s14, v13
	v_addc_co_u32_e32 v14, vcc, 0, v59, vcc
	global_load_dwordx2 v[13:14], v[13:14], off offset:220
	s_waitcnt lgkmcnt(4)
	v_lshrrev_b32_e32 v53, 16, v2
	s_waitcnt lgkmcnt(3)
	v_lshrrev_b32_e32 v56, 16, v21
	v_lshrrev_b32_e32 v60, 16, v3
	;; [unrolled: 1-line block ×4, first 2 shown]
	s_movk_i32 s4, 0x3aee
	s_mov_b32 s5, 0xbaee
	v_lshrrev_b32_e32 v59, 16, v1
	s_waitcnt lgkmcnt(1)
	v_lshrrev_b32_e32 v65, 16, v51
	s_waitcnt lgkmcnt(0)
	v_lshrrev_b32_e32 v66, 16, v50
	v_lshrrev_b32_e32 v62, 16, v30
	s_waitcnt vmcnt(0)
	s_barrier
	v_mul_f16_sdwa v67, v53, v19 dst_sel:DWORD dst_unused:UNUSED_PAD src0_sel:DWORD src1_sel:WORD_1
	v_mul_f16_sdwa v68, v2, v19 dst_sel:DWORD dst_unused:UNUSED_PAD src0_sel:DWORD src1_sel:WORD_1
	v_mul_f16_sdwa v69, v56, v20 dst_sel:DWORD dst_unused:UNUSED_PAD src0_sel:DWORD src1_sel:WORD_1
	v_mul_f16_sdwa v70, v21, v20 dst_sel:DWORD dst_unused:UNUSED_PAD src0_sel:DWORD src1_sel:WORD_1
	v_mul_f16_sdwa v71, v60, v17 dst_sel:DWORD dst_unused:UNUSED_PAD src0_sel:DWORD src1_sel:WORD_1
	v_fma_f16 v67, v2, v19, -v67
	v_fma_f16 v53, v53, v19, v68
	v_fma_f16 v68, v21, v20, -v69
	v_mul_f16_sdwa v72, v3, v17 dst_sel:DWORD dst_unused:UNUSED_PAD src0_sel:DWORD src1_sel:WORD_1
	v_mul_f16_sdwa v73, v61, v18 dst_sel:DWORD dst_unused:UNUSED_PAD src0_sel:DWORD src1_sel:WORD_1
	v_fma_f16 v56, v56, v20, v70
	v_fma_f16 v69, v3, v17, -v71
	v_mul_f16_sdwa v81, v29, v14 dst_sel:DWORD dst_unused:UNUSED_PAD src0_sel:DWORD src1_sel:WORD_1
	v_mul_f16_sdwa v79, v28, v13 dst_sel:DWORD dst_unused:UNUSED_PAD src0_sel:DWORD src1_sel:WORD_1
	;; [unrolled: 1-line block ×4, first 2 shown]
	v_fma_f16 v3, v27, v14, -v81
	v_add_f16_e32 v27, v67, v68
	v_mul_f16_sdwa v74, v22, v18 dst_sel:DWORD dst_unused:UNUSED_PAD src0_sel:DWORD src1_sel:WORD_1
	v_fma_f16 v70, v22, v18, -v73
	v_fma_f16 v2, v26, v13, -v79
	v_fma_f16 v21, v28, v13, v80
	v_fma_f16 v22, v29, v14, v82
	v_add_f16_e32 v26, v0, v67
	v_sub_f16_e32 v28, v53, v56
	v_add_f16_e32 v29, v52, v53
	v_fma_f16 v0, v27, -0.5, v0
	v_add_f16_e32 v27, v29, v56
	v_fma_f16 v29, v28, s4, v0
	v_fma_f16 v0, v28, s5, v0
	v_add_f16_e32 v28, v53, v56
	v_fma_f16 v28, v28, -0.5, v52
	v_sub_f16_e32 v52, v67, v68
	v_fma_f16 v53, v52, s5, v28
	v_fma_f16 v28, v52, s4, v28
	v_add_f16_e32 v52, v1, v69
	v_fma_f16 v60, v60, v17, v72
	v_fma_f16 v61, v61, v18, v74
	v_add_f16_e32 v56, v52, v70
	v_add_f16_e32 v52, v69, v70
	v_fma_f16 v1, v52, -0.5, v1
	v_sub_f16_e32 v52, v60, v61
	v_fma_f16 v67, v52, s4, v1
	v_fma_f16 v1, v52, s5, v1
	v_add_f16_e32 v52, v59, v60
	v_mul_f16_sdwa v75, v65, v15 dst_sel:DWORD dst_unused:UNUSED_PAD src0_sel:DWORD src1_sel:WORD_1
	v_add_f16_e32 v26, v26, v68
	v_add_f16_e32 v68, v52, v61
	;; [unrolled: 1-line block ×3, first 2 shown]
	v_mul_f16_sdwa v76, v51, v15 dst_sel:DWORD dst_unused:UNUSED_PAD src0_sel:DWORD src1_sel:WORD_1
	v_mul_f16_sdwa v77, v66, v16 dst_sel:DWORD dst_unused:UNUSED_PAD src0_sel:DWORD src1_sel:WORD_1
	v_fma_f16 v51, v51, v15, -v75
	v_fma_f16 v52, v52, -0.5, v59
	v_sub_f16_e32 v59, v69, v70
	v_mul_f16_sdwa v78, v50, v16 dst_sel:DWORD dst_unused:UNUSED_PAD src0_sel:DWORD src1_sel:WORD_1
	v_fma_f16 v50, v50, v16, -v77
	v_fma_f16 v69, v59, s5, v52
	v_fma_f16 v70, v59, s4, v52
	v_add_f16_e32 v52, v30, v51
	v_fma_f16 v65, v65, v15, v76
	v_fma_f16 v66, v66, v16, v78
	v_add_f16_e32 v71, v52, v50
	v_add_f16_e32 v52, v51, v50
	v_fma_f16 v30, v52, -0.5, v30
	v_sub_f16_e32 v52, v65, v66
	v_fma_f16 v72, v52, s4, v30
	v_fma_f16 v30, v52, s5, v30
	v_add_f16_e32 v52, v62, v65
	v_add_f16_e32 v73, v52, v66
	v_add_f16_e32 v52, v65, v66
	v_fma_f16 v52, v52, -0.5, v62
	v_sub_f16_e32 v50, v51, v50
	v_add_f16_e32 v51, v2, v3
	v_fma_f16 v65, v50, s5, v52
	v_fma_f16 v50, v50, s4, v52
	v_fma_f16 v51, v51, -0.5, v24
	v_sub_f16_e32 v52, v21, v22
	v_fma_f16 v61, v52, s4, v51
	v_fma_f16 v59, v52, s5, v51
	v_add_f16_e32 v51, v21, v22
	v_fma_f16 v51, v51, -0.5, v25
	v_sub_f16_e32 v52, v2, v3
	v_fma_f16 v62, v52, s5, v51
	v_fma_f16 v60, v52, s4, v51
	v_mul_u32_u24_e32 v51, 0xc6, v54
	s_movk_i32 s4, 0xc6
	v_add_lshl_u32 v51, v51, v55, 2
	v_pack_b32_f16 v0, v0, v28
	v_pack_b32_f16 v26, v26, v27
	;; [unrolled: 1-line block ×3, first 2 shown]
	ds_write_b32 v51, v0 offset:528
	v_mad_legacy_u16 v0, v57, s4, v58
	ds_write2_b32 v51, v26, v27 offset1:66
	v_lshlrev_b32_e32 v52, 2, v0
	v_pack_b32_f16 v0, v56, v68
	v_pack_b32_f16 v26, v67, v69
	ds_write2_b32 v52, v0, v26 offset1:66
	v_pack_b32_f16 v0, v1, v70
	ds_write_b32 v52, v0 offset:528
	v_mad_legacy_u16 v0, v63, s4, v64
	v_lshlrev_b32_e32 v53, 2, v0
	v_pack_b32_f16 v0, v71, v73
	v_pack_b32_f16 v1, v72, v65
	ds_write2_b32 v53, v0, v1 offset1:66
	v_pack_b32_f16 v0, v30, v50
	v_lshlrev_b32_e32 v50, 2, v23
	ds_write_b32 v53, v0 offset:528
	s_and_saveexec_b64 s[4:5], s[2:3]
	s_cbranch_execz .LBB0_15
; %bb.14:
	v_add_f16_e32 v0, v25, v21
	v_add_f16_e32 v1, v24, v2
	;; [unrolled: 1-line block ×4, first 2 shown]
	s_mov_b32 s16, 0x5040100
	v_pack_b32_f16 v0, v1, v0
	v_perm_b32 v1, v62, v61, s16
	v_add_u32_e32 v2, 0x1a00, v50
	ds_write2_b32 v2, v0, v1 offset0:118 offset1:184
	v_perm_b32 v0, v60, v59, s16
	ds_write_b32 v50, v0 offset:7656
.LBB0_15:
	s_or_b64 exec, exec, s[4:5]
	v_lshlrev_b32_e32 v0, 4, v32
	v_add_co_u32_e32 v68, vcc, s14, v0
	v_mov_b32_e32 v1, s15
	s_waitcnt lgkmcnt(0)
	s_barrier
	v_addc_co_u32_e32 v71, vcc, 0, v1, vcc
	global_load_dwordx4 v[0:3], v0, s[14:15] offset:748
	v_add_u32_e32 v73, 0x600, v33
	ds_read2_b32 v[23:24], v73 offset0:12 offset1:210
	v_add_u32_e32 v74, 0xc00, v33
	ds_read2_b32 v[25:26], v74 offset0:24 offset1:222
	;; [unrolled: 2-line block ×3, first 2 shown]
	s_waitcnt lgkmcnt(2)
	v_lshrrev_b32_e32 v55, 16, v23
	v_add_u32_e32 v76, 0x1800, v33
	ds_read2_b32 v[29:30], v76 offset0:48 offset1:246
	s_waitcnt lgkmcnt(2)
	v_lshrrev_b32_e32 v56, 16, v25
	s_waitcnt lgkmcnt(1)
	v_lshrrev_b32_e32 v57, 16, v27
	v_lshrrev_b32_e32 v64, 16, v24
	ds_read2_b32 v[21:22], v33 offset1:198
	s_waitcnt lgkmcnt(1)
	v_lshrrev_b32_e32 v58, 16, v29
	v_lshrrev_b32_e32 v65, 16, v26
	;; [unrolled: 1-line block ×4, first 2 shown]
	s_movk_i32 s4, 0x3b9c
	s_mov_b32 s15, 0xbb9c
	s_movk_i32 s5, 0x38b4
	s_mov_b32 s16, 0xb8b4
	s_movk_i32 s14, 0x34f2
	s_waitcnt lgkmcnt(0)
	v_lshrrev_b32_e32 v54, 16, v21
	v_lshrrev_b32_e32 v63, 16, v22
	s_waitcnt vmcnt(0)
	s_barrier
	v_mul_f16_sdwa v69, v55, v0 dst_sel:DWORD dst_unused:UNUSED_PAD src0_sel:DWORD src1_sel:WORD_1
	v_fma_f16 v69, v23, v0, -v69
	v_mul_f16_sdwa v23, v23, v0 dst_sel:DWORD dst_unused:UNUSED_PAD src0_sel:DWORD src1_sel:WORD_1
	v_fma_f16 v23, v55, v0, v23
	v_mul_f16_sdwa v55, v56, v1 dst_sel:DWORD dst_unused:UNUSED_PAD src0_sel:DWORD src1_sel:WORD_1
	v_fma_f16 v55, v25, v1, -v55
	v_mul_f16_sdwa v25, v25, v1 dst_sel:DWORD dst_unused:UNUSED_PAD src0_sel:DWORD src1_sel:WORD_1
	v_fma_f16 v25, v56, v1, v25
	;; [unrolled: 4-line block ×6, first 2 shown]
	v_mul_f16_sdwa v65, v66, v2 dst_sel:DWORD dst_unused:UNUSED_PAD src0_sel:DWORD src1_sel:WORD_1
	v_add_f16_e32 v70, v55, v56
	v_fma_f16 v65, v28, v2, -v65
	v_mul_f16_sdwa v28, v28, v2 dst_sel:DWORD dst_unused:UNUSED_PAD src0_sel:DWORD src1_sel:WORD_1
	v_fma_f16 v70, v70, -0.5, v21
	v_sub_f16_e32 v72, v23, v29
	v_fma_f16 v28, v66, v2, v28
	v_mul_f16_sdwa v66, v67, v3 dst_sel:DWORD dst_unused:UNUSED_PAD src0_sel:DWORD src1_sel:WORD_1
	v_fma_f16 v77, v72, s4, v70
	v_sub_f16_e32 v78, v25, v27
	v_sub_f16_e32 v79, v69, v55
	;; [unrolled: 1-line block ×3, first 2 shown]
	v_fma_f16 v70, v72, s15, v70
	v_fma_f16 v66, v30, v3, -v66
	v_mul_f16_sdwa v30, v30, v3 dst_sel:DWORD dst_unused:UNUSED_PAD src0_sel:DWORD src1_sel:WORD_1
	v_fma_f16 v77, v78, s5, v77
	v_add_f16_e32 v79, v79, v80
	v_fma_f16 v70, v78, s16, v70
	v_fma_f16 v30, v67, v3, v30
	v_add_f16_e32 v67, v21, v69
	v_fma_f16 v77, v79, s14, v77
	v_fma_f16 v70, v79, s14, v70
	v_add_f16_e32 v79, v69, v57
	v_add_f16_e32 v67, v67, v55
	v_fma_f16 v21, v79, -0.5, v21
	v_add_f16_e32 v67, v67, v56
	v_fma_f16 v79, v78, s15, v21
	v_fma_f16 v21, v78, s4, v21
	v_add_f16_e32 v78, v25, v27
	v_add_f16_e32 v67, v67, v57
	v_sub_f16_e32 v80, v55, v69
	v_sub_f16_e32 v81, v56, v57
	v_fma_f16 v78, v78, -0.5, v54
	v_sub_f16_e32 v57, v69, v57
	v_fma_f16 v79, v72, s5, v79
	v_add_f16_e32 v80, v80, v81
	v_fma_f16 v21, v72, s16, v21
	v_fma_f16 v69, v57, s15, v78
	v_sub_f16_e32 v55, v55, v56
	v_fma_f16 v79, v80, s14, v79
	v_fma_f16 v21, v80, s14, v21
	v_fma_f16 v56, v55, s16, v69
	v_sub_f16_e32 v69, v23, v25
	v_sub_f16_e32 v80, v29, v27
	v_fma_f16 v78, v57, s4, v78
	v_add_f16_e32 v72, v54, v23
	v_add_f16_e32 v69, v69, v80
	v_fma_f16 v78, v55, s5, v78
	v_add_f16_e32 v72, v72, v25
	v_fma_f16 v56, v69, s14, v56
	v_fma_f16 v69, v69, s14, v78
	v_add_f16_e32 v78, v23, v29
	v_add_f16_e32 v72, v72, v27
	v_fma_f16 v54, v78, -0.5, v54
	v_add_f16_e32 v72, v72, v29
	v_fma_f16 v78, v55, s4, v54
	v_sub_f16_e32 v23, v25, v23
	v_sub_f16_e32 v25, v27, v29
	v_add_f16_e32 v29, v64, v65
	v_fma_f16 v78, v57, s16, v78
	v_add_f16_e32 v23, v23, v25
	v_fma_f16 v27, v55, s15, v54
	v_fma_f16 v29, v29, -0.5, v22
	v_sub_f16_e32 v54, v24, v30
	v_fma_f16 v25, v23, s14, v78
	v_fma_f16 v27, v57, s5, v27
	;; [unrolled: 1-line block ×3, first 2 shown]
	v_sub_f16_e32 v57, v26, v28
	v_sub_f16_e32 v78, v58, v64
	;; [unrolled: 1-line block ×3, first 2 shown]
	v_fma_f16 v29, v54, s15, v29
	v_fma_f16 v55, v57, s5, v55
	v_add_f16_e32 v78, v78, v80
	v_fma_f16 v29, v57, s16, v29
	v_fma_f16 v55, v78, s14, v55
	;; [unrolled: 1-line block ×3, first 2 shown]
	v_add_f16_e32 v78, v58, v66
	v_fma_f16 v23, v23, s14, v27
	v_add_f16_e32 v27, v22, v58
	v_fma_f16 v22, v78, -0.5, v22
	v_add_f16_e32 v27, v27, v64
	v_fma_f16 v78, v57, s15, v22
	v_fma_f16 v22, v57, s4, v22
	v_add_f16_e32 v57, v26, v28
	v_add_f16_e32 v27, v27, v65
	v_sub_f16_e32 v80, v64, v58
	v_sub_f16_e32 v81, v65, v66
	v_fma_f16 v57, v57, -0.5, v63
	v_sub_f16_e32 v58, v58, v66
	v_add_f16_e32 v27, v27, v66
	v_fma_f16 v78, v54, s5, v78
	v_add_f16_e32 v80, v80, v81
	v_fma_f16 v22, v54, s16, v22
	v_fma_f16 v66, v58, s15, v57
	v_sub_f16_e32 v64, v64, v65
	v_fma_f16 v78, v80, s14, v78
	v_fma_f16 v22, v80, s14, v22
	;; [unrolled: 1-line block ×3, first 2 shown]
	v_sub_f16_e32 v66, v24, v26
	v_sub_f16_e32 v80, v30, v28
	v_fma_f16 v57, v58, s4, v57
	v_add_f16_e32 v54, v63, v24
	v_add_f16_e32 v66, v66, v80
	v_fma_f16 v57, v64, s5, v57
	v_add_f16_e32 v54, v54, v26
	v_fma_f16 v65, v66, s14, v65
	v_fma_f16 v57, v66, s14, v57
	v_add_f16_e32 v66, v24, v30
	v_add_f16_e32 v54, v54, v28
	v_fma_f16 v63, v66, -0.5, v63
	v_add_f16_e32 v54, v54, v30
	v_fma_f16 v66, v64, s4, v63
	v_sub_f16_e32 v24, v26, v24
	v_sub_f16_e32 v26, v28, v30
	v_pack_b32_f16 v25, v79, v25
	v_pack_b32_f16 v21, v21, v23
	v_fma_f16 v66, v58, s16, v66
	v_add_f16_e32 v24, v24, v26
	v_fma_f16 v28, v64, s15, v63
	ds_write2_b32 v73, v25, v21 offset0:12 offset1:210
	v_pack_b32_f16 v21, v70, v69
	v_pack_b32_f16 v23, v27, v54
	v_fma_f16 v26, v24, s14, v66
	v_fma_f16 v28, v58, s5, v28
	ds_write2_b32 v74, v21, v23 offset0:24 offset1:222
	v_pack_b32_f16 v21, v55, v65
	v_mul_i32_i24_e32 v55, -12, v32
	v_fma_f16 v24, v24, s14, v28
	v_pack_b32_f16 v23, v78, v26
	v_mul_hi_i32_i24_e32 v54, -12, v32
	v_add_co_u32_e32 v55, vcc, v68, v55
	v_pack_b32_f16 v28, v67, v72
	v_pack_b32_f16 v30, v77, v56
	ds_write2_b32 v75, v21, v23 offset0:36 offset1:234
	v_pack_b32_f16 v21, v22, v24
	v_pack_b32_f16 v22, v29, v57
	v_addc_co_u32_e32 v56, vcc, v71, v54, vcc
	ds_write2_b32 v33, v28, v30 offset1:198
	ds_write2_b32 v76, v21, v22 offset0:48 offset1:246
	s_waitcnt lgkmcnt(0)
	s_barrier
	global_load_dword v54, v[55:56], off offset:3916
	ds_read2_b32 v[29:30], v74 offset0:24 offset1:222
	s_movk_i32 s14, 0x1000
	ds_read2_b32 v[21:22], v75 offset0:36 offset1:234
	ds_read2_b32 v[26:27], v76 offset0:48 offset1:246
	ds_read2_b32 v[24:25], v33 offset1:198
	s_waitcnt lgkmcnt(3)
	v_lshrrev_b32_e32 v28, 16, v30
	ds_read2_b32 v[69:70], v73 offset0:12 offset1:210
	s_waitcnt lgkmcnt(3)
	v_lshrrev_b32_e32 v57, 16, v21
	v_lshrrev_b32_e32 v58, 16, v22
	s_waitcnt lgkmcnt(2)
	v_lshrrev_b32_e32 v65, 16, v26
	v_lshrrev_b32_e32 v78, 16, v27
	;; [unrolled: 3-line block ×4, first 2 shown]
	v_lshrrev_b32_e32 v67, 16, v69
	s_waitcnt vmcnt(0)
	v_mul_f16_sdwa v63, v28, v54 dst_sel:DWORD dst_unused:UNUSED_PAD src0_sel:DWORD src1_sel:WORD_1
	v_fma_f16 v68, v30, v54, -v63
	v_add_co_u32_e32 v63, vcc, s14, v55
	v_addc_co_u32_e32 v64, vcc, 0, v56, vcc
	global_load_dword v55, v[63:64], off offset:612
	global_load_dword v56, v[63:64], off offset:1404
	v_mul_f16_sdwa v30, v30, v54 dst_sel:DWORD dst_unused:UNUSED_PAD src0_sel:DWORD src1_sel:WORD_1
	v_fma_f16 v28, v28, v54, v30
	s_waitcnt vmcnt(1)
	v_mul_f16_sdwa v30, v57, v55 dst_sel:DWORD dst_unused:UNUSED_PAD src0_sel:DWORD src1_sel:WORD_1
	v_fma_f16 v30, v21, v55, -v30
	v_mul_f16_sdwa v21, v21, v55 dst_sel:DWORD dst_unused:UNUSED_PAD src0_sel:DWORD src1_sel:WORD_1
	v_fma_f16 v71, v57, v55, v21
	s_waitcnt vmcnt(0)
	v_mul_f16_sdwa v21, v58, v56 dst_sel:DWORD dst_unused:UNUSED_PAD src0_sel:DWORD src1_sel:WORD_1
	global_load_dword v57, v[63:64], off offset:2196
	v_fma_f16 v79, v22, v56, -v21
	v_mul_f16_sdwa v21, v22, v56 dst_sel:DWORD dst_unused:UNUSED_PAD src0_sel:DWORD src1_sel:WORD_1
	v_fma_f16 v80, v58, v56, v21
	global_load_dword v58, v[63:64], off offset:2988
	v_sub_f16_e32 v22, v24, v68
	v_sub_f16_e32 v63, v23, v28
	v_fma_f16 v64, v23, 2.0, -v63
	v_sub_f16_e32 v68, v67, v80
	v_fma_f16 v67, v67, 2.0, -v68
	s_waitcnt vmcnt(1)
	v_mul_f16_sdwa v21, v65, v57 dst_sel:DWORD dst_unused:UNUSED_PAD src0_sel:DWORD src1_sel:WORD_1
	v_fma_f16 v81, v26, v57, -v21
	v_mul_f16_sdwa v21, v26, v57 dst_sel:DWORD dst_unused:UNUSED_PAD src0_sel:DWORD src1_sel:WORD_1
	v_fma_f16 v82, v65, v57, v21
	s_waitcnt vmcnt(0)
	v_mul_f16_sdwa v21, v78, v58 dst_sel:DWORD dst_unused:UNUSED_PAD src0_sel:DWORD src1_sel:WORD_1
	v_fma_f16 v83, v27, v58, -v21
	v_mul_f16_sdwa v21, v27, v58 dst_sel:DWORD dst_unused:UNUSED_PAD src0_sel:DWORD src1_sel:WORD_1
	v_fma_f16 v78, v78, v58, v21
	v_fma_f16 v21, v24, 2.0, -v22
	v_sub_f16_e32 v24, v25, v30
	v_sub_f16_e32 v65, v66, v71
	;; [unrolled: 1-line block ×3, first 2 shown]
	v_fma_f16 v23, v25, 2.0, -v24
	v_fma_f16 v66, v66, 2.0, -v65
	;; [unrolled: 1-line block ×3, first 2 shown]
	v_sub_f16_e32 v28, v70, v81
	v_sub_f16_e32 v69, v72, v82
	;; [unrolled: 1-line block ×3, first 2 shown]
	v_fma_f16 v27, v70, 2.0, -v28
	v_fma_f16 v70, v72, 2.0, -v69
	;; [unrolled: 1-line block ×3, first 2 shown]
	v_pack_b32_f16 v77, v21, v64
	v_pack_b32_f16 v79, v23, v66
	v_sub_f16_e32 v30, v29, v83
	ds_write2_b32 v33, v77, v79 offset1:198
	v_pack_b32_f16 v77, v24, v65
	v_pack_b32_f16 v80, v26, v68
	v_fma_f16 v29, v29, 2.0, -v30
	v_pack_b32_f16 v79, v25, v67
	ds_write2_b32 v75, v77, v80 offset0:36 offset1:234
	v_pack_b32_f16 v75, v27, v70
	v_pack_b32_f16 v78, v22, v63
	ds_write2_b32 v73, v79, v75 offset0:12 offset1:210
	v_pack_b32_f16 v75, v29, v72
	;; [unrolled: 3-line block ×3, first 2 shown]
	ds_write2_b32 v76, v73, v74 offset0:48 offset1:246
	s_waitcnt lgkmcnt(0)
	s_barrier
	s_and_saveexec_b64 s[4:5], s[0:1]
	s_cbranch_execz .LBB0_17
; %bb.16:
	v_add_co_u32_e32 v77, vcc, s6, v31
	v_mov_b32_e32 v73, s7
	v_addc_co_u32_e32 v78, vcc, 0, v73, vcc
	v_add_co_u32_e32 v73, vcc, 0x1ef0, v77
	v_addc_co_u32_e32 v74, vcc, 0, v78, vcc
	v_add_co_u32_e32 v75, vcc, s14, v77
	v_addc_co_u32_e32 v76, vcc, 0, v78, vcc
	global_load_dword v75, v[75:76], off offset:3824
	ds_read_b32 v79, v33
	global_load_dword v81, v[73:74], off offset:720
	s_movk_i32 s14, 0x2000
	s_waitcnt lgkmcnt(0)
	v_lshrrev_b32_e32 v80, 16, v79
	s_waitcnt vmcnt(1)
	v_mul_f16_sdwa v76, v80, v75 dst_sel:DWORD dst_unused:UNUSED_PAD src0_sel:DWORD src1_sel:WORD_1
	v_fma_f16 v76, v79, v75, -v76
	v_mul_f16_sdwa v79, v79, v75 dst_sel:DWORD dst_unused:UNUSED_PAD src0_sel:DWORD src1_sel:WORD_1
	v_fma_f16 v75, v80, v75, v79
	v_pack_b32_f16 v75, v76, v75
	ds_write_b32 v33, v75
	v_add_u32_e32 v79, 0x200, v31
	ds_read2_b32 v[75:76], v79 offset0:52 offset1:232
	s_waitcnt lgkmcnt(0)
	v_lshrrev_b32_e32 v80, 16, v75
	s_waitcnt vmcnt(0)
	v_mul_f16_sdwa v82, v80, v81 dst_sel:DWORD dst_unused:UNUSED_PAD src0_sel:DWORD src1_sel:WORD_1
	v_fma_f16 v82, v75, v81, -v82
	v_mul_f16_sdwa v75, v75, v81 dst_sel:DWORD dst_unused:UNUSED_PAD src0_sel:DWORD src1_sel:WORD_1
	v_fma_f16 v75, v80, v81, v75
	global_load_dword v81, v[73:74], off offset:1440
	v_lshrrev_b32_e32 v80, 16, v76
	v_pack_b32_f16 v75, v82, v75
	s_waitcnt vmcnt(0)
	v_mul_f16_sdwa v82, v80, v81 dst_sel:DWORD dst_unused:UNUSED_PAD src0_sel:DWORD src1_sel:WORD_1
	v_fma_f16 v82, v76, v81, -v82
	v_mul_f16_sdwa v76, v76, v81 dst_sel:DWORD dst_unused:UNUSED_PAD src0_sel:DWORD src1_sel:WORD_1
	v_fma_f16 v76, v80, v81, v76
	global_load_dword v81, v[73:74], off offset:2160
	v_pack_b32_f16 v76, v82, v76
	ds_write2_b32 v79, v75, v76 offset0:52 offset1:232
	v_add_u32_e32 v79, 0x800, v31
	ds_read2_b32 v[75:76], v79 offset0:28 offset1:208
	s_waitcnt lgkmcnt(0)
	v_lshrrev_b32_e32 v80, 16, v75
	s_waitcnt vmcnt(0)
	v_mul_f16_sdwa v82, v80, v81 dst_sel:DWORD dst_unused:UNUSED_PAD src0_sel:DWORD src1_sel:WORD_1
	v_fma_f16 v82, v75, v81, -v82
	v_mul_f16_sdwa v75, v75, v81 dst_sel:DWORD dst_unused:UNUSED_PAD src0_sel:DWORD src1_sel:WORD_1
	v_fma_f16 v75, v80, v81, v75
	global_load_dword v81, v[73:74], off offset:2880
	v_lshrrev_b32_e32 v80, 16, v76
	global_load_dword v73, v[73:74], off offset:3600
	v_pack_b32_f16 v75, v82, v75
	s_waitcnt vmcnt(1)
	v_mul_f16_sdwa v82, v80, v81 dst_sel:DWORD dst_unused:UNUSED_PAD src0_sel:DWORD src1_sel:WORD_1
	v_fma_f16 v82, v76, v81, -v82
	v_mul_f16_sdwa v76, v76, v81 dst_sel:DWORD dst_unused:UNUSED_PAD src0_sel:DWORD src1_sel:WORD_1
	v_fma_f16 v76, v80, v81, v76
	v_pack_b32_f16 v76, v82, v76
	ds_write2_b32 v79, v75, v76 offset0:28 offset1:208
	v_add_u32_e32 v79, 0xe00, v31
	ds_read2_b32 v[75:76], v79 offset0:4 offset1:184
	s_waitcnt lgkmcnt(0)
	v_lshrrev_b32_e32 v80, 16, v75
	s_waitcnt vmcnt(0)
	v_mul_f16_sdwa v74, v80, v73 dst_sel:DWORD dst_unused:UNUSED_PAD src0_sel:DWORD src1_sel:WORD_1
	v_fma_f16 v74, v75, v73, -v74
	v_mul_f16_sdwa v75, v75, v73 dst_sel:DWORD dst_unused:UNUSED_PAD src0_sel:DWORD src1_sel:WORD_1
	v_fma_f16 v73, v80, v73, v75
	v_pack_b32_f16 v75, v74, v73
	v_add_co_u32_e32 v73, vcc, s14, v77
	v_addc_co_u32_e32 v74, vcc, 0, v78, vcc
	global_load_dword v73, v[73:74], off offset:4048
	v_lshrrev_b32_e32 v80, 16, v76
	s_movk_i32 s14, 0x3000
	s_waitcnt vmcnt(0)
	v_mul_f16_sdwa v74, v80, v73 dst_sel:DWORD dst_unused:UNUSED_PAD src0_sel:DWORD src1_sel:WORD_1
	v_fma_f16 v74, v76, v73, -v74
	v_mul_f16_sdwa v76, v76, v73 dst_sel:DWORD dst_unused:UNUSED_PAD src0_sel:DWORD src1_sel:WORD_1
	v_fma_f16 v73, v80, v73, v76
	v_pack_b32_f16 v73, v74, v73
	ds_write2_b32 v79, v75, v73 offset0:4 offset1:184
	v_add_co_u32_e32 v75, vcc, s14, v77
	v_addc_co_u32_e32 v76, vcc, 0, v78, vcc
	global_load_dword v77, v[75:76], off offset:672
	v_add_u32_e32 v79, 0x1300, v31
	ds_read2_b32 v[73:74], v79 offset0:44 offset1:224
	s_waitcnt lgkmcnt(0)
	v_lshrrev_b32_e32 v80, 16, v73
	s_waitcnt vmcnt(0)
	v_mul_f16_sdwa v78, v80, v77 dst_sel:DWORD dst_unused:UNUSED_PAD src0_sel:DWORD src1_sel:WORD_1
	v_fma_f16 v78, v73, v77, -v78
	v_mul_f16_sdwa v73, v73, v77 dst_sel:DWORD dst_unused:UNUSED_PAD src0_sel:DWORD src1_sel:WORD_1
	v_fma_f16 v73, v80, v77, v73
	v_pack_b32_f16 v73, v78, v73
	global_load_dword v78, v[75:76], off offset:1392
	v_lshrrev_b32_e32 v77, 16, v74
	s_waitcnt vmcnt(0)
	v_mul_f16_sdwa v80, v77, v78 dst_sel:DWORD dst_unused:UNUSED_PAD src0_sel:DWORD src1_sel:WORD_1
	v_fma_f16 v80, v74, v78, -v80
	v_mul_f16_sdwa v74, v74, v78 dst_sel:DWORD dst_unused:UNUSED_PAD src0_sel:DWORD src1_sel:WORD_1
	v_fma_f16 v74, v77, v78, v74
	v_pack_b32_f16 v74, v80, v74
	ds_write2_b32 v79, v73, v74 offset0:44 offset1:224
	global_load_dword v79, v[75:76], off offset:2112
	v_add_u32_e32 v77, 0x1900, v31
	global_load_dword v75, v[75:76], off offset:2832
	ds_read2_b32 v[73:74], v77 offset0:20 offset1:200
	s_waitcnt lgkmcnt(0)
	v_lshrrev_b32_e32 v78, 16, v73
	s_waitcnt vmcnt(1)
	v_mul_f16_sdwa v80, v78, v79 dst_sel:DWORD dst_unused:UNUSED_PAD src0_sel:DWORD src1_sel:WORD_1
	v_fma_f16 v80, v73, v79, -v80
	v_mul_f16_sdwa v73, v73, v79 dst_sel:DWORD dst_unused:UNUSED_PAD src0_sel:DWORD src1_sel:WORD_1
	v_fma_f16 v73, v78, v79, v73
	v_lshrrev_b32_e32 v78, 16, v74
	s_waitcnt vmcnt(0)
	v_mul_f16_sdwa v76, v78, v75 dst_sel:DWORD dst_unused:UNUSED_PAD src0_sel:DWORD src1_sel:WORD_1
	v_fma_f16 v76, v74, v75, -v76
	v_mul_f16_sdwa v74, v74, v75 dst_sel:DWORD dst_unused:UNUSED_PAD src0_sel:DWORD src1_sel:WORD_1
	v_fma_f16 v74, v78, v75, v74
	v_pack_b32_f16 v73, v80, v73
	v_pack_b32_f16 v74, v76, v74
	ds_write2_b32 v77, v73, v74 offset0:20 offset1:200
.LBB0_17:
	s_or_b64 exec, exec, s[4:5]
	s_waitcnt lgkmcnt(0)
	s_barrier
	s_and_saveexec_b64 s[4:5], s[0:1]
	s_cbranch_execz .LBB0_19
; %bb.18:
	v_add_u32_e32 v23, 0x500, v33
	v_add_u32_e32 v25, 0xb00, v33
	v_add_u32_e32 v27, 0x1000, v33
	v_add_u32_e32 v29, 0x1600, v33
	ds_read2_b32 v[21:22], v33 offset1:180
	ds_read2_b32 v[23:24], v23 offset0:40 offset1:220
	ds_read2_b32 v[25:26], v25 offset0:16 offset1:196
	;; [unrolled: 1-line block ×4, first 2 shown]
	ds_read_b32 v61, v33 offset:7200
	s_waitcnt lgkmcnt(5)
	v_lshrrev_b32_e32 v64, 16, v21
	v_lshrrev_b32_e32 v63, 16, v22
	s_waitcnt lgkmcnt(4)
	v_lshrrev_b32_e32 v66, 16, v23
	v_lshrrev_b32_e32 v65, 16, v24
	;; [unrolled: 3-line block ×5, first 2 shown]
	s_waitcnt lgkmcnt(0)
	v_lshrrev_b32_e32 v62, 16, v61
.LBB0_19:
	s_or_b64 exec, exec, s[4:5]
	v_sub_f16_e32 v95, v63, v62
	v_add_f16_e32 v78, v61, v22
	v_add_f16_e32 v82, v62, v63
	s_movk_i32 s14, 0x3abb
	v_mul_f16_e32 v75, 0xb853, v95
	v_sub_f16_e32 v96, v66, v71
	v_sub_f16_e32 v97, v22, v61
	s_mov_b32 s4, 0xb853
	v_mul_f16_e32 v77, 0x3abb, v82
	v_fma_f16 v73, v78, s14, -v75
	v_add_f16_e32 v81, v30, v23
	v_add_f16_e32 v86, v71, v66
	s_movk_i32 s15, 0x36a6
	v_mul_f16_e32 v76, 0xbb47, v96
	v_add_f16_e32 v73, v21, v73
	v_fma_f16 v74, v97, s4, v77
	v_sub_f16_e32 v99, v23, v30
	s_mov_b32 s4, 0xbb47
	v_mul_f16_e32 v80, 0x36a6, v86
	v_fma_f16 v79, v81, s15, -v76
	v_add_f16_e32 v74, v64, v74
	v_add_f16_e32 v73, v79, v73
	v_fma_f16 v79, v99, s4, v80
	v_sub_f16_e32 v98, v65, v72
	v_add_f16_e32 v74, v79, v74
	v_add_f16_e32 v85, v29, v24
	;; [unrolled: 1-line block ×3, first 2 shown]
	s_mov_b32 s16, 0xb08e
	v_mul_f16_e32 v79, 0xbbeb, v98
	v_sub_f16_e32 v101, v24, v29
	s_mov_b32 s4, 0xbbeb
	v_mul_f16_e32 v84, 0xb08e, v90
	v_fma_f16 v83, v85, s16, -v79
	v_add_f16_e32 v73, v83, v73
	v_fma_f16 v83, v101, s4, v84
	v_sub_f16_e32 v100, v67, v69
	v_add_f16_e32 v74, v83, v74
	v_add_f16_e32 v89, v28, v25
	;; [unrolled: 1-line block ×3, first 2 shown]
	v_mul_f16_e32 v83, 0xba0c, v100
	v_sub_f16_e32 v103, v25, v28
	s_mov_b32 s4, 0xba0c
	v_mul_f16_e32 v88, 0xb93d, v93
	v_fma_f16 v87, v89, s17, -v83
	v_add_f16_e32 v73, v87, v73
	v_fma_f16 v87, v103, s4, v88
	v_sub_f16_e32 v102, v68, v70
	v_add_f16_e32 v74, v87, v74
	v_add_f16_e32 v92, v27, v26
	;; [unrolled: 1-line block ×3, first 2 shown]
	s_mov_b32 s18, 0xbbad
	v_mul_f16_e32 v87, 0xb482, v102
	v_sub_f16_e32 v104, v26, v27
	s_mov_b32 s4, 0xb482
	v_mul_f16_e32 v91, 0xbbad, v94
	v_fma_f16 v105, v92, s18, -v87
	v_add_f16_e32 v73, v105, v73
	v_fma_f16 v105, v104, s4, v91
	v_add_f16_e32 v74, v105, v74
	s_barrier
	s_and_saveexec_b64 s[4:5], s[0:1]
	s_cbranch_execz .LBB0_21
; %bb.20:
	v_mul_f16_e32 v115, 0xbb47, v97
	v_fma_f16 v116, v82, s15, v115
	v_mul_f16_e32 v117, 0xba0c, v99
	v_add_f16_e32 v116, v64, v116
	v_fma_f16 v118, v86, s17, v117
	v_add_f16_e32 v116, v118, v116
	v_mul_f16_e32 v118, 0x3482, v101
	v_fma_f16 v119, v90, s18, v118
	v_add_f16_e32 v116, v119, v116
	v_mul_f16_e32 v119, 0x3beb, v103
	;; [unrolled: 3-line block ×4, first 2 shown]
	v_fma_f16 v122, v78, s15, -v121
	v_mul_f16_e32 v123, 0xba0c, v96
	v_add_f16_e32 v122, v21, v122
	v_fma_f16 v124, v81, s17, -v123
	v_add_f16_e32 v122, v124, v122
	v_mul_f16_e32 v124, 0x3482, v98
	v_fma_f16 v125, v85, s18, -v124
	v_add_f16_e32 v122, v125, v122
	v_mul_f16_e32 v125, 0x3beb, v100
	;; [unrolled: 3-line block ×4, first 2 shown]
	v_fma_f16 v128, v82, s16, v127
	v_mul_f16_e32 v129, 0x3482, v99
	v_add_f16_e32 v128, v64, v128
	v_fma_f16 v130, v86, s18, v129
	v_add_f16_e32 v128, v130, v128
	v_mul_f16_e32 v130, 0x3b47, v101
	v_fma_f16 v131, v90, s15, v130
	v_add_f16_e32 v128, v131, v128
	v_mul_f16_e32 v131, 0xb853, v103
	;; [unrolled: 3-line block ×4, first 2 shown]
	v_fma_f16 v134, v78, s16, -v133
	v_mul_f16_e32 v135, 0x3482, v96
	v_add_f16_e32 v134, v21, v134
	v_fma_f16 v136, v81, s18, -v135
	v_add_f16_e32 v134, v136, v134
	v_mul_f16_e32 v136, 0x3b47, v98
	v_fma_f16 v137, v85, s15, -v136
	v_add_f16_e32 v134, v137, v134
	v_mul_f16_e32 v137, 0xb853, v100
	;; [unrolled: 3-line block ×4, first 2 shown]
	v_fma_f16 v140, v82, s17, v139
	v_mul_f16_e32 v141, 0x3beb, v99
	v_add_f16_e32 v140, v64, v140
	v_fma_f16 v142, v86, s16, v141
	v_add_f16_e32 v140, v142, v140
	v_mul_f16_e32 v142, 0xb853, v101
	v_fma_f16 v143, v90, s14, v142
	v_add_f16_e32 v140, v143, v140
	v_mul_f16_e32 v143, 0xb482, v103
	;; [unrolled: 3-line block ×4, first 2 shown]
	v_fma_f16 v146, v78, s17, -v145
	v_mul_f16_e32 v147, 0x3beb, v96
	v_add_f16_e32 v146, v21, v146
	v_fma_f16 v148, v81, s16, -v147
	v_add_f16_e32 v146, v148, v146
	v_mul_f16_e32 v148, 0xb853, v98
	v_fma_f16 v149, v85, s14, -v148
	v_add_f16_e32 v146, v149, v146
	v_mul_f16_e32 v149, 0xb482, v100
	;; [unrolled: 3-line block ×3, first 2 shown]
	v_mul_f16_e32 v106, 0xb853, v97
	v_fma_f16 v151, v92, s15, -v150
	v_mul_f16_e32 v97, 0xb482, v97
	v_mul_f16_e32 v108, 0xbb47, v99
	v_add_f16_e32 v146, v151, v146
	v_fma_f16 v151, v82, s18, v97
	v_mul_f16_e32 v99, 0x3853, v99
	v_mul_f16_e32 v110, 0xbbeb, v101
	v_add_f16_e32 v151, v64, v151
	v_fma_f16 v152, v86, s14, v99
	;; [unrolled: 4-line block ×4, first 2 shown]
	v_mul_f16_e32 v104, 0xbbeb, v104
	v_add_f16_e32 v151, v152, v151
	v_fma_f16 v152, v94, s16, v104
	v_mul_f16_e32 v95, 0xb482, v95
	v_add_f16_e32 v151, v152, v151
	v_fma_f16 v152, v78, s18, -v95
	v_mul_f16_e32 v96, 0x3853, v96
	v_fma_f16 v95, v78, s18, v95
	v_fma_f16 v153, v81, s14, -v96
	v_mul_f16_e32 v98, 0xba0c, v98
	v_add_f16_e32 v95, v21, v95
	v_fma_f16 v96, v81, s14, v96
	v_mul_f16_e32 v100, 0x3b47, v100
	v_add_f16_e32 v95, v96, v95
	v_fma_f16 v96, v85, s17, v98
	;; [unrolled: 3-line block ×3, first 2 shown]
	v_add_f16_e32 v95, v96, v95
	v_fma_f16 v96, v92, s16, v102
	v_add_f16_e32 v152, v21, v152
	v_add_f16_e32 v95, v96, v95
	v_fma_f16 v96, v82, s17, -v139
	v_add_f16_e32 v152, v153, v152
	v_fma_f16 v153, v85, s17, -v98
	v_fma_f16 v97, v82, s18, -v97
	v_add_f16_e32 v96, v64, v96
	v_fma_f16 v98, v86, s16, -v141
	v_add_f16_e32 v97, v64, v97
	;; [unrolled: 2-line block ×9, first 2 shown]
	v_fma_f16 v98, v78, s17, v145
	v_add_f16_e32 v97, v99, v97
	v_add_f16_e32 v98, v21, v98
	v_fma_f16 v99, v81, s16, v147
	v_add_f16_e32 v98, v99, v98
	v_fma_f16 v99, v85, s14, v148
	;; [unrolled: 2-line block ×4, first 2 shown]
	v_add_f16_e32 v98, v99, v98
	v_fma_f16 v99, v82, s16, -v127
	v_add_f16_e32 v152, v153, v152
	v_fma_f16 v153, v89, s15, -v100
	;; [unrolled: 2-line block ×5, first 2 shown]
	v_mul_f16_e32 v105, 0x3abb, v78
	v_add_f16_e32 v99, v100, v99
	v_fma_f16 v100, v94, s17, -v132
	v_add_f16_e32 v99, v100, v99
	v_fma_f16 v100, v78, s16, v133
	v_fma_f16 v78, v78, s15, v121
	v_add_f16_e32 v75, v105, v75
	v_add_f16_e32 v100, v21, v100
	;; [unrolled: 1-line block ×12, first 2 shown]
	v_mul_f16_e32 v107, 0x36a6, v81
	v_sub_f16_e32 v77, v77, v106
	v_add_f16_e32 v21, v26, v21
	v_add_f16_e32 v22, v68, v22
	v_mul_f16_e32 v109, 0xb08e, v85
	v_fma_f16 v82, v82, s15, -v115
	v_add_f16_e32 v77, v64, v77
	v_sub_f16_e32 v80, v80, v108
	v_add_f16_e32 v76, v107, v76
	v_add_f16_e32 v21, v27, v21
	;; [unrolled: 1-line block ×3, first 2 shown]
	v_mul_f16_e32 v111, 0xb93d, v89
	v_fma_f16 v101, v81, s18, v135
	v_add_f16_e32 v82, v64, v82
	v_fma_f16 v86, v86, s17, -v117
	v_fma_f16 v81, v81, s17, v123
	v_add_f16_e32 v77, v80, v77
	v_sub_f16_e32 v80, v84, v110
	v_add_f16_e32 v75, v76, v75
	v_add_f16_e32 v76, v109, v79
	;; [unrolled: 1-line block ×4, first 2 shown]
	v_mul_f16_e32 v113, 0xbbad, v92
	v_add_f16_e32 v100, v101, v100
	v_fma_f16 v101, v85, s15, v136
	v_add_f16_e32 v82, v86, v82
	v_fma_f16 v86, v90, s18, -v118
	v_add_f16_e32 v78, v81, v78
	v_fma_f16 v81, v85, s18, v124
	v_add_f16_e32 v77, v80, v77
	v_sub_f16_e32 v80, v88, v112
	v_add_f16_e32 v75, v76, v75
	v_add_f16_e32 v76, v111, v83
	;; [unrolled: 1-line block ×5, first 2 shown]
	v_fma_f16 v101, v89, s14, v137
	v_add_f16_e32 v82, v86, v82
	v_fma_f16 v86, v93, s16, -v119
	v_add_f16_e32 v78, v81, v78
	v_fma_f16 v81, v89, s16, v125
	v_add_f16_e32 v77, v80, v77
	v_sub_f16_e32 v80, v91, v114
	v_add_f16_e32 v75, v76, v75
	v_add_f16_e32 v76, v113, v87
	;; [unrolled: 1-line block ×5, first 2 shown]
	v_fma_f16 v101, v92, s17, v138
	v_add_f16_e32 v82, v86, v82
	v_fma_f16 v86, v94, s14, -v120
	v_add_f16_e32 v78, v81, v78
	v_fma_f16 v81, v92, s14, v126
	v_add_f16_e32 v77, v80, v77
	v_add_f16_e32 v75, v76, v75
	;; [unrolled: 1-line block ×7, first 2 shown]
	v_lshlrev_b32_e32 v23, 2, v34
	v_pack_b32_f16 v24, v75, v77
	v_pack_b32_f16 v21, v21, v22
	v_add_f16_e32 v152, v153, v152
	v_fma_f16 v153, v92, s16, -v102
	ds_write2_b32 v23, v21, v24 offset1:1
	v_pack_b32_f16 v21, v100, v99
	v_pack_b32_f16 v22, v78, v82
	v_add_f16_e32 v152, v153, v152
	ds_write2_b32 v23, v22, v21 offset0:2 offset1:3
	v_pack_b32_f16 v21, v95, v97
	v_pack_b32_f16 v22, v98, v96
	ds_write2_b32 v23, v22, v21 offset0:4 offset1:5
	v_pack_b32_f16 v21, v146, v140
	v_pack_b32_f16 v22, v152, v151
	;; [unrolled: 3-line block ×3, first 2 shown]
	s_mov_b32 s14, 0x5040100
	ds_write2_b32 v23, v22, v21 offset0:8 offset1:9
	v_perm_b32 v21, v74, v73, s14
	ds_write_b32 v23, v21 offset:40
.LBB0_21:
	s_or_b64 exec, exec, s[4:5]
	v_add_u32_e32 v23, 0xc00, v33
	s_waitcnt lgkmcnt(0)
	s_barrier
	ds_read2_b32 v[23:24], v23 offset0:24 offset1:222
	v_add_u32_e32 v25, 0x1200, v33
	ds_read2_b32 v[25:26], v25 offset0:36 offset1:234
	v_add_u32_e32 v29, 0x1800, v33
	ds_read2_b32 v[29:30], v29 offset0:48 offset1:246
	s_waitcnt lgkmcnt(2)
	v_lshrrev_b32_e32 v61, 16, v24
	v_mul_f16_sdwa v70, v41, v61 dst_sel:DWORD dst_unused:UNUSED_PAD src0_sel:WORD_1 src1_sel:DWORD
	s_waitcnt lgkmcnt(1)
	v_lshrrev_b32_e32 v63, 16, v25
	v_fma_f16 v70, v41, v24, v70
	v_mul_f16_sdwa v24, v41, v24 dst_sel:DWORD dst_unused:UNUSED_PAD src0_sel:WORD_1 src1_sel:DWORD
	v_fma_f16 v24, v41, v61, -v24
	v_mul_f16_sdwa v41, v40, v63 dst_sel:DWORD dst_unused:UNUSED_PAD src0_sel:WORD_1 src1_sel:DWORD
	v_lshrrev_b32_e32 v65, 16, v26
	v_fma_f16 v41, v40, v25, v41
	v_mul_f16_sdwa v25, v40, v25 dst_sel:DWORD dst_unused:UNUSED_PAD src0_sel:WORD_1 src1_sel:DWORD
	ds_read2_b32 v[21:22], v33 offset1:198
	v_fma_f16 v25, v40, v63, -v25
	v_mul_f16_sdwa v40, v39, v65 dst_sel:DWORD dst_unused:UNUSED_PAD src0_sel:WORD_1 src1_sel:DWORD
	v_add_u32_e32 v27, 0x600, v33
	s_waitcnt lgkmcnt(1)
	v_lshrrev_b32_e32 v67, 16, v29
	v_fma_f16 v40, v39, v26, v40
	v_mul_f16_sdwa v26, v39, v26 dst_sel:DWORD dst_unused:UNUSED_PAD src0_sel:WORD_1 src1_sel:DWORD
	ds_read2_b32 v[27:28], v27 offset0:12 offset1:210
	v_fma_f16 v26, v39, v65, -v26
	v_mul_f16_sdwa v39, v38, v67 dst_sel:DWORD dst_unused:UNUSED_PAD src0_sel:WORD_1 src1_sel:DWORD
	v_lshrrev_b32_e32 v69, 16, v30
	v_fma_f16 v39, v38, v29, v39
	v_mul_f16_sdwa v29, v38, v29 dst_sel:DWORD dst_unused:UNUSED_PAD src0_sel:WORD_1 src1_sel:DWORD
	v_fma_f16 v29, v38, v67, -v29
	v_mul_f16_sdwa v38, v37, v69 dst_sel:DWORD dst_unused:UNUSED_PAD src0_sel:WORD_1 src1_sel:DWORD
	s_waitcnt lgkmcnt(1)
	v_lshrrev_b32_e32 v34, 16, v21
	v_fma_f16 v38, v37, v30, v38
	v_mul_f16_sdwa v30, v37, v30 dst_sel:DWORD dst_unused:UNUSED_PAD src0_sel:WORD_1 src1_sel:DWORD
	v_lshrrev_b32_e32 v62, 16, v22
	v_fma_f16 v30, v37, v69, -v30
	v_sub_f16_e32 v37, v21, v70
	v_sub_f16_e32 v24, v34, v24
	s_waitcnt lgkmcnt(0)
	v_lshrrev_b32_e32 v64, 16, v27
	v_fma_f16 v21, v21, 2.0, -v37
	v_fma_f16 v34, v34, 2.0, -v24
	v_sub_f16_e32 v41, v22, v41
	v_sub_f16_e32 v25, v62, v25
	v_lshrrev_b32_e32 v66, 16, v28
	v_fma_f16 v22, v22, 2.0, -v41
	v_fma_f16 v61, v62, 2.0, -v25
	v_sub_f16_e32 v40, v27, v40
	v_sub_f16_e32 v26, v64, v26
	v_pack_b32_f16 v21, v21, v34
	v_pack_b32_f16 v24, v37, v24
	v_lshrrev_b32_e32 v68, 16, v23
	v_fma_f16 v62, v27, 2.0, -v40
	v_fma_f16 v63, v64, 2.0, -v26
	v_sub_f16_e32 v39, v28, v39
	v_sub_f16_e32 v29, v66, v29
	s_barrier
	ds_write2_b32 v42, v21, v24 offset1:11
	v_pack_b32_f16 v21, v22, v61
	v_pack_b32_f16 v22, v41, v25
	v_fma_f16 v64, v28, 2.0, -v39
	v_fma_f16 v65, v66, 2.0, -v29
	v_sub_f16_e32 v27, v23, v38
	v_sub_f16_e32 v28, v68, v30
	ds_write2_b32 v43, v21, v22 offset1:11
	v_pack_b32_f16 v21, v62, v63
	v_pack_b32_f16 v22, v40, v26
	v_fma_f16 v23, v23, 2.0, -v27
	v_fma_f16 v30, v68, 2.0, -v28
	ds_write2_b32 v44, v21, v22 offset1:11
	v_pack_b32_f16 v21, v64, v65
	v_pack_b32_f16 v22, v39, v29
	ds_write2_b32 v45, v21, v22 offset1:11
	v_pack_b32_f16 v21, v23, v30
	v_pack_b32_f16 v22, v27, v28
	v_add_u32_e32 v23, 0xa00, v33
	v_add_u32_e32 v25, 0x1400, v33
	ds_write2_b32 v46, v21, v22 offset1:11
	s_waitcnt lgkmcnt(0)
	s_barrier
	ds_read2_b32 v[21:22], v33 offset1:198
	ds_read2_b32 v[23:24], v23 offset0:20 offset1:218
	ds_read2_b32 v[25:26], v25 offset0:40 offset1:238
	ds_read_b32 v29, v33 offset:1584
	ds_read_b32 v34, v33 offset:4224
	;; [unrolled: 1-line block ×3, first 2 shown]
	s_and_saveexec_b64 s[4:5], s[2:3]
	s_cbranch_execz .LBB0_23
; %bb.22:
	ds_read_b32 v27, v33 offset:2376
	ds_read_b32 v73, v33 offset:5016
	;; [unrolled: 1-line block ×3, first 2 shown]
	s_waitcnt lgkmcnt(2)
	v_lshrrev_b32_e32 v28, 16, v27
	s_waitcnt lgkmcnt(1)
	v_lshrrev_b32_e32 v74, 16, v73
	s_waitcnt lgkmcnt(0)
	v_lshrrev_b32_e32 v60, 16, v59
.LBB0_23:
	s_or_b64 exec, exec, s[4:5]
	s_waitcnt lgkmcnt(4)
	v_lshrrev_b32_e32 v38, 16, v23
	v_mul_f16_sdwa v46, v5, v38 dst_sel:DWORD dst_unused:UNUSED_PAD src0_sel:WORD_1 src1_sel:DWORD
	s_waitcnt lgkmcnt(3)
	v_lshrrev_b32_e32 v39, 16, v25
	v_fma_f16 v46, v5, v23, v46
	v_mul_f16_sdwa v23, v5, v23 dst_sel:DWORD dst_unused:UNUSED_PAD src0_sel:WORD_1 src1_sel:DWORD
	v_fma_f16 v5, v5, v38, -v23
	v_mul_f16_sdwa v23, v6, v39 dst_sel:DWORD dst_unused:UNUSED_PAD src0_sel:WORD_1 src1_sel:DWORD
	v_lshrrev_b32_e32 v41, 16, v24
	v_fma_f16 v23, v6, v25, v23
	v_mul_f16_sdwa v25, v6, v25 dst_sel:DWORD dst_unused:UNUSED_PAD src0_sel:WORD_1 src1_sel:DWORD
	v_fma_f16 v6, v6, v39, -v25
	v_mul_f16_sdwa v25, v9, v41 dst_sel:DWORD dst_unused:UNUSED_PAD src0_sel:WORD_1 src1_sel:DWORD
	;; [unrolled: 5-line block ×3, first 2 shown]
	s_waitcnt lgkmcnt(1)
	v_lshrrev_b32_e32 v44, 16, v34
	v_fma_f16 v24, v10, v26, v24
	v_mul_f16_sdwa v26, v10, v26 dst_sel:DWORD dst_unused:UNUSED_PAD src0_sel:WORD_1 src1_sel:DWORD
	v_fma_f16 v10, v10, v42, -v26
	v_mul_f16_sdwa v26, v7, v44 dst_sel:DWORD dst_unused:UNUSED_PAD src0_sel:WORD_1 src1_sel:DWORD
	s_waitcnt lgkmcnt(0)
	v_lshrrev_b32_e32 v45, 16, v30
	v_fma_f16 v26, v7, v34, v26
	v_mul_f16_sdwa v34, v7, v34 dst_sel:DWORD dst_unused:UNUSED_PAD src0_sel:WORD_1 src1_sel:DWORD
	v_fma_f16 v7, v7, v44, -v34
	v_mul_f16_sdwa v34, v8, v45 dst_sel:DWORD dst_unused:UNUSED_PAD src0_sel:WORD_1 src1_sel:DWORD
	v_fma_f16 v34, v8, v30, v34
	v_mul_f16_sdwa v30, v8, v30 dst_sel:DWORD dst_unused:UNUSED_PAD src0_sel:WORD_1 src1_sel:DWORD
	v_fma_f16 v8, v8, v45, -v30
	v_mul_f16_sdwa v30, v11, v74 dst_sel:DWORD dst_unused:UNUSED_PAD src0_sel:WORD_1 src1_sel:DWORD
	v_mul_f16_sdwa v38, v11, v73 dst_sel:DWORD dst_unused:UNUSED_PAD src0_sel:WORD_1 src1_sel:DWORD
	v_fma_f16 v30, v11, v73, v30
	v_fma_f16 v38, v11, v74, -v38
	v_mul_f16_sdwa v11, v12, v60 dst_sel:DWORD dst_unused:UNUSED_PAD src0_sel:WORD_1 src1_sel:DWORD
	v_fma_f16 v39, v12, v59, v11
	v_mul_f16_sdwa v11, v12, v59 dst_sel:DWORD dst_unused:UNUSED_PAD src0_sel:WORD_1 src1_sel:DWORD
	v_fma_f16 v41, v12, v60, -v11
	v_add_f16_e32 v11, v21, v46
	v_add_f16_e32 v42, v11, v23
	v_add_f16_e32 v11, v46, v23
	v_lshrrev_b32_e32 v37, 16, v21
	v_fma_f16 v11, v11, -0.5, v21
	v_sub_f16_e32 v12, v5, v6
	s_mov_b32 s4, 0xbaee
	s_movk_i32 s5, 0x3aee
	v_fma_f16 v44, v12, s4, v11
	v_fma_f16 v45, v12, s5, v11
	v_add_f16_e32 v11, v37, v5
	v_add_f16_e32 v59, v11, v6
	;; [unrolled: 1-line block ×3, first 2 shown]
	v_lshrrev_b32_e32 v40, 16, v22
	v_fma_f16 v11, v11, -0.5, v22
	v_sub_f16_e32 v12, v9, v10
	v_add_f16_e32 v5, v5, v6
	v_sub_f16_e32 v6, v46, v23
	v_fma_f16 v46, v12, s4, v11
	v_fma_f16 v60, v12, s5, v11
	v_add_f16_e32 v11, v40, v9
	v_add_f16_e32 v61, v11, v10
	;; [unrolled: 1-line block ×4, first 2 shown]
	v_lshrrev_b32_e32 v43, 16, v29
	v_fma_f16 v5, v5, -0.5, v37
	v_fma_f16 v9, v9, -0.5, v40
	v_sub_f16_e32 v10, v25, v24
	v_fma_f16 v11, v11, -0.5, v29
	v_sub_f16_e32 v12, v7, v8
	v_fma_f16 v37, v6, s5, v5
	v_fma_f16 v5, v6, s4, v5
	v_add_f16_e32 v6, v22, v25
	v_fma_f16 v25, v10, s5, v9
	v_fma_f16 v9, v10, s4, v9
	v_add_f16_e32 v10, v29, v26
	;; [unrolled: 3-line block ×3, first 2 shown]
	v_add_f16_e32 v7, v7, v8
	v_add_f16_e32 v62, v11, v8
	v_fma_f16 v7, v7, -0.5, v43
	v_sub_f16_e32 v8, v26, v34
	v_fma_f16 v26, v8, s5, v7
	v_fma_f16 v7, v8, s4, v7
	v_add_f16_e32 v8, v30, v27
	v_add_f16_e32 v11, v8, v39
	;; [unrolled: 1-line block ×3, first 2 shown]
	v_fma_f16 v8, v8, -0.5, v27
	v_sub_f16_e32 v21, v38, v41
	v_fma_f16 v12, v21, s4, v8
	v_fma_f16 v21, v21, s5, v8
	v_add_f16_e32 v8, v38, v28
	v_add_f16_e32 v22, v41, v8
	;; [unrolled: 1-line block ×4, first 2 shown]
	v_fma_f16 v8, v8, -0.5, v28
	v_sub_f16_e32 v24, v30, v39
	v_pack_b32_f16 v5, v45, v5
	v_fma_f16 v23, v24, s5, v8
	v_fma_f16 v24, v24, s4, v8
	s_barrier
	v_pack_b32_f16 v8, v42, v59
	v_pack_b32_f16 v27, v44, v37
	ds_write_b32 v47, v5 offset:176
	v_pack_b32_f16 v5, v6, v61
	v_pack_b32_f16 v6, v46, v25
	v_add_f16_e32 v10, v10, v34
	ds_write2_b32 v47, v8, v27 offset1:22
	ds_write2_b32 v48, v5, v6 offset1:22
	v_pack_b32_f16 v5, v60, v9
	ds_write_b32 v48, v5 offset:176
	v_pack_b32_f16 v5, v10, v62
	v_pack_b32_f16 v6, v29, v26
	ds_write2_b32 v49, v5, v6 offset1:22
	v_pack_b32_f16 v5, v40, v7
	ds_write_b32 v49, v5 offset:176
	s_and_saveexec_b64 s[4:5], s[2:3]
	s_cbranch_execz .LBB0_25
; %bb.24:
	s_movk_i32 s14, 0x42
	v_mad_legacy_u16 v5, v35, s14, v36
	s_mov_b32 s14, 0x5040100
	v_lshlrev_b32_e32 v5, 2, v5
	v_perm_b32 v6, v22, v11, s14
	v_perm_b32 v7, v23, v12, s14
	ds_write2_b32 v5, v6, v7 offset1:22
	v_perm_b32 v6, v24, v21, s14
	ds_write_b32 v5, v6 offset:176
.LBB0_25:
	s_or_b64 exec, exec, s[4:5]
	v_add_u32_e32 v7, 0xa00, v33
	v_add_u32_e32 v9, 0x1400, v33
	s_waitcnt lgkmcnt(0)
	s_barrier
	ds_read2_b32 v[5:6], v33 offset1:198
	ds_read2_b32 v[7:8], v7 offset0:20 offset1:218
	ds_read2_b32 v[9:10], v9 offset0:40 offset1:238
	ds_read_b32 v25, v33 offset:1584
	ds_read_b32 v27, v33 offset:4224
	;; [unrolled: 1-line block ×3, first 2 shown]
	s_and_saveexec_b64 s[4:5], s[2:3]
	s_cbranch_execz .LBB0_27
; %bb.26:
	ds_read_b32 v11, v33 offset:2376
	ds_read_b32 v12, v33 offset:5016
	;; [unrolled: 1-line block ×3, first 2 shown]
	s_waitcnt lgkmcnt(2)
	v_lshrrev_b32_e32 v22, 16, v11
	s_waitcnt lgkmcnt(1)
	v_lshrrev_b32_e32 v23, 16, v12
	;; [unrolled: 2-line block ×3, first 2 shown]
.LBB0_27:
	s_or_b64 exec, exec, s[4:5]
	s_waitcnt lgkmcnt(4)
	v_lshrrev_b32_e32 v29, 16, v7
	v_mul_f16_sdwa v40, v19, v29 dst_sel:DWORD dst_unused:UNUSED_PAD src0_sel:WORD_1 src1_sel:DWORD
	s_waitcnt lgkmcnt(3)
	v_lshrrev_b32_e32 v30, 16, v9
	v_fma_f16 v40, v19, v7, v40
	v_mul_f16_sdwa v7, v19, v7 dst_sel:DWORD dst_unused:UNUSED_PAD src0_sel:WORD_1 src1_sel:DWORD
	v_fma_f16 v7, v19, v29, -v7
	v_mul_f16_sdwa v19, v20, v30 dst_sel:DWORD dst_unused:UNUSED_PAD src0_sel:WORD_1 src1_sel:DWORD
	v_lshrrev_b32_e32 v35, 16, v8
	v_fma_f16 v19, v20, v9, v19
	v_mul_f16_sdwa v9, v20, v9 dst_sel:DWORD dst_unused:UNUSED_PAD src0_sel:WORD_1 src1_sel:DWORD
	v_fma_f16 v9, v20, v30, -v9
	v_mul_f16_sdwa v20, v17, v35 dst_sel:DWORD dst_unused:UNUSED_PAD src0_sel:WORD_1 src1_sel:DWORD
	;; [unrolled: 5-line block ×3, first 2 shown]
	s_waitcnt lgkmcnt(1)
	v_lshrrev_b32_e32 v38, 16, v27
	v_fma_f16 v17, v18, v10, v17
	v_mul_f16_sdwa v10, v18, v10 dst_sel:DWORD dst_unused:UNUSED_PAD src0_sel:WORD_1 src1_sel:DWORD
	v_fma_f16 v10, v18, v36, -v10
	v_mul_f16_sdwa v18, v15, v38 dst_sel:DWORD dst_unused:UNUSED_PAD src0_sel:WORD_1 src1_sel:DWORD
	s_waitcnt lgkmcnt(0)
	v_lshrrev_b32_e32 v39, 16, v26
	v_fma_f16 v18, v15, v27, v18
	v_mul_f16_sdwa v27, v15, v27 dst_sel:DWORD dst_unused:UNUSED_PAD src0_sel:WORD_1 src1_sel:DWORD
	v_fma_f16 v15, v15, v38, -v27
	v_mul_f16_sdwa v27, v16, v39 dst_sel:DWORD dst_unused:UNUSED_PAD src0_sel:WORD_1 src1_sel:DWORD
	v_fma_f16 v27, v16, v26, v27
	v_mul_f16_sdwa v26, v16, v26 dst_sel:DWORD dst_unused:UNUSED_PAD src0_sel:WORD_1 src1_sel:DWORD
	v_add_f16_e32 v29, v40, v19
	v_lshrrev_b32_e32 v28, 16, v5
	v_fma_f16 v16, v16, v39, -v26
	v_add_f16_e32 v26, v5, v40
	v_fma_f16 v5, v29, -0.5, v5
	v_sub_f16_e32 v29, v7, v9
	s_mov_b32 s14, 0xbaee
	s_movk_i32 s15, 0x3aee
	v_fma_f16 v30, v29, s14, v5
	v_fma_f16 v5, v29, s15, v5
	v_add_f16_e32 v29, v28, v7
	v_add_f16_e32 v7, v7, v9
	;; [unrolled: 1-line block ×3, first 2 shown]
	v_fma_f16 v7, v7, -0.5, v28
	v_sub_f16_e32 v9, v40, v19
	v_add_f16_e32 v28, v20, v17
	v_lshrrev_b32_e32 v34, 16, v6
	v_add_f16_e32 v26, v26, v19
	v_fma_f16 v19, v9, s15, v7
	v_fma_f16 v7, v9, s14, v7
	v_add_f16_e32 v9, v6, v20
	v_fma_f16 v6, v28, -0.5, v6
	v_sub_f16_e32 v28, v8, v10
	v_fma_f16 v35, v28, s14, v6
	v_fma_f16 v6, v28, s15, v6
	v_add_f16_e32 v28, v34, v8
	v_add_f16_e32 v8, v8, v10
	;; [unrolled: 1-line block ×3, first 2 shown]
	v_fma_f16 v8, v8, -0.5, v34
	v_sub_f16_e32 v10, v20, v17
	v_add_f16_e32 v20, v18, v27
	v_lshrrev_b32_e32 v37, 16, v25
	v_add_f16_e32 v9, v9, v17
	v_fma_f16 v17, v10, s15, v8
	v_fma_f16 v8, v10, s14, v8
	v_add_f16_e32 v10, v25, v18
	v_fma_f16 v20, v20, -0.5, v25
	v_sub_f16_e32 v25, v15, v16
	v_fma_f16 v34, v25, s14, v20
	v_fma_f16 v20, v25, s15, v20
	v_add_f16_e32 v25, v37, v15
	v_add_f16_e32 v15, v15, v16
	;; [unrolled: 1-line block ×3, first 2 shown]
	v_fma_f16 v15, v15, -0.5, v37
	v_sub_f16_e32 v16, v18, v27
	v_pack_b32_f16 v5, v5, v7
	v_fma_f16 v18, v16, s15, v15
	v_fma_f16 v15, v16, s14, v15
	s_barrier
	v_pack_b32_f16 v16, v26, v29
	v_pack_b32_f16 v19, v30, v19
	ds_write_b32 v51, v5 offset:528
	v_pack_b32_f16 v5, v9, v28
	v_pack_b32_f16 v7, v35, v17
	v_add_f16_e32 v10, v10, v27
	ds_write2_b32 v51, v16, v19 offset1:66
	ds_write2_b32 v52, v5, v7 offset1:66
	v_pack_b32_f16 v5, v6, v8
	ds_write_b32 v52, v5 offset:528
	v_pack_b32_f16 v5, v10, v25
	v_pack_b32_f16 v6, v34, v18
	ds_write2_b32 v53, v5, v6 offset1:66
	v_pack_b32_f16 v5, v20, v15
	ds_write_b32 v53, v5 offset:528
	s_and_saveexec_b64 s[4:5], s[2:3]
	s_cbranch_execz .LBB0_29
; %bb.28:
	v_mul_f16_sdwa v5, v14, v21 dst_sel:DWORD dst_unused:UNUSED_PAD src0_sel:WORD_1 src1_sel:DWORD
	v_mul_f16_sdwa v6, v13, v12 dst_sel:DWORD dst_unused:UNUSED_PAD src0_sel:WORD_1 src1_sel:DWORD
	;; [unrolled: 1-line block ×4, first 2 shown]
	v_fma_f16 v5, v14, v24, -v5
	v_fma_f16 v6, v13, v23, -v6
	v_fma_f16 v8, v13, v12, v8
	v_fma_f16 v10, v14, v21, v10
	v_add_f16_e32 v7, v6, v22
	v_add_f16_e32 v9, v8, v11
	;; [unrolled: 1-line block ×3, first 2 shown]
	v_sub_f16_e32 v13, v8, v10
	v_add_f16_e32 v8, v8, v10
	v_add_f16_e32 v7, v5, v7
	v_fma_f16 v12, v12, -0.5, v22
	v_fma_f16 v8, v8, -0.5, v11
	v_sub_f16_e32 v5, v6, v5
	v_add_f16_e32 v9, v9, v10
	v_fma_f16 v14, v13, s14, v12
	v_fma_f16 v12, v13, s15, v12
	;; [unrolled: 1-line block ×4, first 2 shown]
	v_pack_b32_f16 v7, v9, v7
	v_pack_b32_f16 v5, v5, v12
	v_add_u32_e32 v8, 0x1a00, v50
	ds_write2_b32 v8, v7, v5 offset0:118 offset1:184
	v_pack_b32_f16 v5, v6, v14
	ds_write_b32 v50, v5 offset:7656
.LBB0_29:
	s_or_b64 exec, exec, s[4:5]
	v_add_u32_e32 v15, 0x600, v33
	s_waitcnt lgkmcnt(0)
	s_barrier
	ds_read2_b32 v[7:8], v15 offset0:12 offset1:210
	v_add_u32_e32 v16, 0xc00, v33
	ds_read2_b32 v[9:10], v16 offset0:24 offset1:222
	v_add_u32_e32 v17, 0x1200, v33
	;; [unrolled: 2-line block ×3, first 2 shown]
	s_waitcnt lgkmcnt(2)
	v_lshrrev_b32_e32 v20, 16, v7
	ds_read2_b32 v[13:14], v18 offset0:48 offset1:246
	v_mul_f16_sdwa v29, v0, v20 dst_sel:DWORD dst_unused:UNUSED_PAD src0_sel:WORD_1 src1_sel:DWORD
	s_waitcnt lgkmcnt(2)
	v_lshrrev_b32_e32 v21, 16, v9
	v_fma_f16 v29, v0, v7, v29
	v_mul_f16_sdwa v7, v0, v7 dst_sel:DWORD dst_unused:UNUSED_PAD src0_sel:WORD_1 src1_sel:DWORD
	v_fma_f16 v7, v0, v20, -v7
	v_mul_f16_sdwa v20, v1, v21 dst_sel:DWORD dst_unused:UNUSED_PAD src0_sel:WORD_1 src1_sel:DWORD
	s_waitcnt lgkmcnt(1)
	v_lshrrev_b32_e32 v22, 16, v11
	v_fma_f16 v20, v1, v9, v20
	v_mul_f16_sdwa v9, v1, v9 dst_sel:DWORD dst_unused:UNUSED_PAD src0_sel:WORD_1 src1_sel:DWORD
	v_fma_f16 v9, v1, v21, -v9
	;; [unrolled: 6-line block ×3, first 2 shown]
	v_mul_f16_sdwa v22, v3, v23 dst_sel:DWORD dst_unused:UNUSED_PAD src0_sel:WORD_1 src1_sel:DWORD
	v_lshrrev_b32_e32 v25, 16, v8
	v_fma_f16 v22, v3, v13, v22
	v_mul_f16_sdwa v13, v3, v13 dst_sel:DWORD dst_unused:UNUSED_PAD src0_sel:WORD_1 src1_sel:DWORD
	v_fma_f16 v13, v3, v23, -v13
	v_mul_f16_sdwa v23, v0, v25 dst_sel:DWORD dst_unused:UNUSED_PAD src0_sel:WORD_1 src1_sel:DWORD
	v_lshrrev_b32_e32 v26, 16, v10
	v_fma_f16 v23, v0, v8, v23
	v_mul_f16_sdwa v8, v0, v8 dst_sel:DWORD dst_unused:UNUSED_PAD src0_sel:WORD_1 src1_sel:DWORD
	ds_read2_b32 v[5:6], v33 offset1:198
	v_fma_f16 v0, v0, v25, -v8
	v_mul_f16_sdwa v8, v1, v26 dst_sel:DWORD dst_unused:UNUSED_PAD src0_sel:WORD_1 src1_sel:DWORD
	v_lshrrev_b32_e32 v27, 16, v12
	v_fma_f16 v8, v1, v10, v8
	v_mul_f16_sdwa v10, v1, v10 dst_sel:DWORD dst_unused:UNUSED_PAD src0_sel:WORD_1 src1_sel:DWORD
	v_fma_f16 v1, v1, v26, -v10
	v_mul_f16_sdwa v10, v2, v27 dst_sel:DWORD dst_unused:UNUSED_PAD src0_sel:WORD_1 src1_sel:DWORD
	v_lshrrev_b32_e32 v28, 16, v14
	v_fma_f16 v10, v2, v12, v10
	v_mul_f16_sdwa v12, v2, v12 dst_sel:DWORD dst_unused:UNUSED_PAD src0_sel:WORD_1 src1_sel:DWORD
	v_fma_f16 v2, v2, v27, -v12
	v_mul_f16_sdwa v12, v3, v28 dst_sel:DWORD dst_unused:UNUSED_PAD src0_sel:WORD_1 src1_sel:DWORD
	v_add_f16_e32 v25, v20, v21
	v_fma_f16 v12, v3, v14, v12
	v_mul_f16_sdwa v14, v3, v14 dst_sel:DWORD dst_unused:UNUSED_PAD src0_sel:WORD_1 src1_sel:DWORD
	s_waitcnt lgkmcnt(0)
	v_fma_f16 v25, v25, -0.5, v5
	v_sub_f16_e32 v26, v7, v13
	s_mov_b32 s2, 0xbb9c
	s_movk_i32 s5, 0x3b9c
	v_fma_f16 v3, v3, v28, -v14
	v_fma_f16 v27, v26, s2, v25
	v_sub_f16_e32 v28, v9, v11
	s_mov_b32 s3, 0xb8b4
	v_sub_f16_e32 v30, v29, v20
	v_sub_f16_e32 v34, v22, v21
	v_fma_f16 v25, v26, s5, v25
	s_movk_i32 s14, 0x38b4
	v_fma_f16 v27, v28, s3, v27
	v_add_f16_e32 v30, v30, v34
	s_movk_i32 s4, 0x34f2
	v_fma_f16 v25, v28, s14, v25
	v_add_f16_e32 v14, v5, v29
	v_fma_f16 v27, v30, s4, v27
	v_fma_f16 v25, v30, s4, v25
	v_add_f16_e32 v30, v29, v22
	v_lshrrev_b32_e32 v19, 16, v5
	v_add_f16_e32 v14, v14, v20
	v_fma_f16 v5, v30, -0.5, v5
	v_add_f16_e32 v14, v14, v21
	v_fma_f16 v30, v28, s5, v5
	v_fma_f16 v5, v28, s2, v5
	v_add_f16_e32 v28, v9, v11
	v_add_f16_e32 v14, v14, v22
	v_sub_f16_e32 v34, v20, v29
	v_sub_f16_e32 v35, v21, v22
	v_fma_f16 v28, v28, -0.5, v19
	v_sub_f16_e32 v22, v29, v22
	v_fma_f16 v30, v26, s3, v30
	v_add_f16_e32 v34, v34, v35
	v_fma_f16 v5, v26, s14, v5
	v_fma_f16 v29, v22, s5, v28
	v_sub_f16_e32 v20, v20, v21
	v_fma_f16 v30, v34, s4, v30
	v_fma_f16 v5, v34, s4, v5
	;; [unrolled: 1-line block ×3, first 2 shown]
	v_sub_f16_e32 v29, v7, v9
	v_sub_f16_e32 v34, v13, v11
	v_fma_f16 v28, v22, s2, v28
	v_add_f16_e32 v26, v19, v7
	v_add_f16_e32 v29, v29, v34
	v_fma_f16 v28, v20, s3, v28
	v_add_f16_e32 v26, v26, v9
	v_fma_f16 v21, v29, s4, v21
	v_fma_f16 v28, v29, s4, v28
	v_add_f16_e32 v29, v7, v13
	v_add_f16_e32 v26, v26, v11
	v_fma_f16 v19, v29, -0.5, v19
	v_add_f16_e32 v26, v26, v13
	v_fma_f16 v29, v20, s2, v19
	v_sub_f16_e32 v7, v9, v7
	v_sub_f16_e32 v9, v11, v13
	v_add_f16_e32 v13, v8, v10
	v_fma_f16 v29, v22, s14, v29
	v_add_f16_e32 v7, v7, v9
	v_fma_f16 v11, v20, s5, v19
	v_fma_f16 v13, v13, -0.5, v6
	v_sub_f16_e32 v19, v0, v3
	v_fma_f16 v9, v7, s4, v29
	v_fma_f16 v11, v22, s3, v11
	;; [unrolled: 1-line block ×3, first 2 shown]
	v_sub_f16_e32 v22, v1, v2
	v_sub_f16_e32 v29, v23, v8
	;; [unrolled: 1-line block ×3, first 2 shown]
	v_fma_f16 v13, v19, s5, v13
	v_fma_f16 v20, v22, s3, v20
	v_add_f16_e32 v29, v29, v34
	v_fma_f16 v13, v22, s14, v13
	v_fma_f16 v7, v7, s4, v11
	v_add_f16_e32 v11, v6, v23
	;; [unrolled: 3-line block ×3, first 2 shown]
	v_lshrrev_b32_e32 v24, 16, v6
	v_add_f16_e32 v11, v11, v8
	v_fma_f16 v6, v29, -0.5, v6
	v_add_f16_e32 v11, v11, v10
	v_fma_f16 v29, v22, s5, v6
	v_fma_f16 v6, v22, s2, v6
	v_add_f16_e32 v22, v1, v2
	v_add_f16_e32 v11, v11, v12
	v_sub_f16_e32 v34, v8, v23
	v_sub_f16_e32 v35, v10, v12
	v_fma_f16 v22, v22, -0.5, v24
	v_sub_f16_e32 v12, v23, v12
	v_fma_f16 v29, v19, s3, v29
	v_add_f16_e32 v34, v34, v35
	v_fma_f16 v6, v19, s14, v6
	v_fma_f16 v23, v12, s5, v22
	v_sub_f16_e32 v8, v8, v10
	v_fma_f16 v29, v34, s4, v29
	v_fma_f16 v6, v34, s4, v6
	;; [unrolled: 1-line block ×3, first 2 shown]
	v_sub_f16_e32 v23, v0, v1
	v_sub_f16_e32 v34, v3, v2
	v_fma_f16 v22, v12, s2, v22
	v_add_f16_e32 v23, v23, v34
	v_fma_f16 v22, v8, s3, v22
	v_add_f16_e32 v19, v24, v0
	v_fma_f16 v10, v23, s4, v10
	v_fma_f16 v22, v23, s4, v22
	v_add_f16_e32 v23, v0, v3
	v_add_f16_e32 v19, v19, v1
	v_fma_f16 v23, v23, -0.5, v24
	v_add_f16_e32 v19, v19, v2
	v_fma_f16 v24, v8, s2, v23
	v_sub_f16_e32 v0, v1, v0
	v_sub_f16_e32 v1, v2, v3
	v_fma_f16 v2, v8, s5, v23
	v_fma_f16 v24, v12, s14, v24
	v_add_f16_e32 v0, v0, v1
	v_fma_f16 v2, v12, s3, v2
	v_add_f16_e32 v19, v19, v3
	v_fma_f16 v1, v0, s4, v24
	v_fma_f16 v0, v0, s4, v2
	v_pack_b32_f16 v2, v14, v26
	v_pack_b32_f16 v3, v27, v21
	s_barrier
	ds_write2_b32 v33, v2, v3 offset1:198
	v_pack_b32_f16 v2, v30, v9
	v_pack_b32_f16 v3, v5, v7
	ds_write2_b32 v15, v2, v3 offset0:12 offset1:210
	v_pack_b32_f16 v2, v25, v28
	v_pack_b32_f16 v3, v11, v19
	ds_write2_b32 v16, v2, v3 offset0:24 offset1:222
	;; [unrolled: 3-line block ×4, first 2 shown]
	s_waitcnt lgkmcnt(0)
	s_barrier
	ds_read2_b32 v[0:1], v33 offset1:198
	ds_read2_b32 v[2:3], v16 offset0:24 offset1:222
	ds_read2_b32 v[5:6], v17 offset0:36 offset1:234
	;; [unrolled: 1-line block ×4, first 2 shown]
	s_waitcnt lgkmcnt(4)
	v_lshrrev_b32_e32 v11, 16, v0
	s_waitcnt lgkmcnt(3)
	v_lshrrev_b32_e32 v12, 16, v3
	v_mul_f16_sdwa v25, v54, v12 dst_sel:DWORD dst_unused:UNUSED_PAD src0_sel:WORD_1 src1_sel:DWORD
	s_waitcnt lgkmcnt(2)
	v_lshrrev_b32_e32 v14, 16, v5
	v_fma_f16 v25, v54, v3, v25
	v_mul_f16_sdwa v3, v54, v3 dst_sel:DWORD dst_unused:UNUSED_PAD src0_sel:WORD_1 src1_sel:DWORD
	v_fma_f16 v3, v54, v12, -v3
	v_mul_f16_sdwa v12, v55, v14 dst_sel:DWORD dst_unused:UNUSED_PAD src0_sel:WORD_1 src1_sel:DWORD
	v_lshrrev_b32_e32 v20, 16, v6
	v_fma_f16 v12, v55, v5, v12
	v_mul_f16_sdwa v5, v55, v5 dst_sel:DWORD dst_unused:UNUSED_PAD src0_sel:WORD_1 src1_sel:DWORD
	v_fma_f16 v5, v55, v14, -v5
	v_mul_f16_sdwa v14, v56, v20 dst_sel:DWORD dst_unused:UNUSED_PAD src0_sel:WORD_1 src1_sel:DWORD
	s_waitcnt lgkmcnt(0)
	v_lshrrev_b32_e32 v22, 16, v9
	v_fma_f16 v14, v56, v6, v14
	v_mul_f16_sdwa v6, v56, v6 dst_sel:DWORD dst_unused:UNUSED_PAD src0_sel:WORD_1 src1_sel:DWORD
	v_fma_f16 v6, v56, v20, -v6
	v_mul_f16_sdwa v20, v57, v22 dst_sel:DWORD dst_unused:UNUSED_PAD src0_sel:WORD_1 src1_sel:DWORD
	v_lshrrev_b32_e32 v24, 16, v10
	v_fma_f16 v20, v57, v9, v20
	v_mul_f16_sdwa v9, v57, v9 dst_sel:DWORD dst_unused:UNUSED_PAD src0_sel:WORD_1 src1_sel:DWORD
	v_fma_f16 v9, v57, v22, -v9
	v_mul_f16_sdwa v22, v58, v24 dst_sel:DWORD dst_unused:UNUSED_PAD src0_sel:WORD_1 src1_sel:DWORD
	v_lshrrev_b32_e32 v13, 16, v1
	v_fma_f16 v22, v58, v10, v22
	v_mul_f16_sdwa v10, v58, v10 dst_sel:DWORD dst_unused:UNUSED_PAD src0_sel:WORD_1 src1_sel:DWORD
	v_fma_f16 v10, v58, v24, -v10
	v_sub_f16_e32 v24, v0, v25
	v_sub_f16_e32 v3, v11, v3
	;; [unrolled: 1-line block ×4, first 2 shown]
	v_lshrrev_b32_e32 v19, 16, v7
	v_lshrrev_b32_e32 v21, 16, v8
	v_fma_f16 v0, v0, 2.0, -v24
	v_fma_f16 v11, v11, 2.0, -v3
	;; [unrolled: 1-line block ×4, first 2 shown]
	v_lshrrev_b32_e32 v23, 16, v2
	v_sub_f16_e32 v14, v7, v14
	v_sub_f16_e32 v6, v19, v6
	;; [unrolled: 1-line block ×4, first 2 shown]
	v_pack_b32_f16 v0, v0, v11
	v_pack_b32_f16 v1, v1, v13
	v_fma_f16 v7, v7, 2.0, -v14
	v_fma_f16 v19, v19, 2.0, -v6
	;; [unrolled: 1-line block ×4, first 2 shown]
	v_sub_f16_e32 v22, v2, v22
	v_sub_f16_e32 v10, v23, v10
	ds_write2_b32 v33, v0, v1 offset1:198
	v_pack_b32_f16 v0, v12, v5
	v_pack_b32_f16 v5, v14, v6
	v_fma_f16 v2, v2, 2.0, -v22
	v_fma_f16 v23, v23, 2.0, -v10
	v_pack_b32_f16 v1, v7, v19
	ds_write2_b32 v17, v0, v5 offset0:36 offset1:234
	v_pack_b32_f16 v0, v8, v21
	v_pack_b32_f16 v3, v24, v3
	ds_write2_b32 v15, v1, v0 offset0:12 offset1:210
	v_pack_b32_f16 v1, v2, v23
	;; [unrolled: 3-line block ×3, first 2 shown]
	ds_write2_b32 v18, v0, v1 offset0:48 offset1:246
	s_waitcnt lgkmcnt(0)
	s_barrier
	s_and_b64 exec, exec, s[0:1]
	s_cbranch_execz .LBB0_31
; %bb.30:
	global_load_dword v6, v31, s[6:7]
	ds_read_b32 v7, v33
	global_load_dword v3, v31, s[6:7] offset:720
	global_load_dword v5, v31, s[6:7] offset:1440
	v_mad_u64_u32 v[0:1], s[0:1], s10, v4, 0
	v_mov_b32_e32 v8, s7
	v_add_co_u32_e32 v9, vcc, s6, v31
	s_movk_i32 s0, 0x1000
	v_addc_co_u32_e32 v8, vcc, 0, v8, vcc
	v_add_co_u32_e32 v13, vcc, s0, v9
	v_addc_co_u32_e32 v14, vcc, 0, v8, vcc
	global_load_dword v8, v[13:14], off offset:224
	global_load_dword v10, v[13:14], off offset:944
	;; [unrolled: 1-line block ×5, first 2 shown]
	s_waitcnt lgkmcnt(0)
	v_lshrrev_b32_e32 v13, 16, v7
	s_mov_b32 s14, 0xb37565e2
	s_mov_b32 s15, 0x3f408cab
	v_mov_b32_e32 v2, 0x7c00
	v_mad_u64_u32 v[17:18], s[0:1], s11, v4, v[1:2]
	s_movk_i32 s10, 0x1ff
	v_add_u32_e32 v1, 0x200, v31
	s_movk_i32 s16, 0xffe
	ds_read2_b32 v[18:19], v1 offset0:52 offset1:232
	v_mov_b32_e32 v1, v17
	s_movk_i32 s17, 0x40f
	s_mov_b32 s18, 0x8000
	v_lshlrev_b64 v[0:1], 2, v[0:1]
	s_waitcnt vmcnt(7)
	v_mul_f16_sdwa v14, v13, v6 dst_sel:DWORD dst_unused:UNUSED_PAD src0_sel:DWORD src1_sel:WORD_1
	v_fma_f16 v14, v7, v6, v14
	v_mul_f16_sdwa v7, v7, v6 dst_sel:DWORD dst_unused:UNUSED_PAD src0_sel:DWORD src1_sel:WORD_1
	v_cvt_f32_f16_e32 v14, v14
	v_fma_f16 v6, v6, v13, -v7
	v_cvt_f32_f16_e32 v15, v6
	v_cvt_f64_f32_e32 v[6:7], v14
	v_mad_u64_u32 v[13:14], s[0:1], s8, v32, 0
	v_cvt_f64_f32_e32 v[15:16], v15
	v_mul_f64 v[6:7], v[6:7], s[14:15]
	v_mul_f64 v[15:16], v[15:16], s[14:15]
	v_and_or_b32 v4, v7, s10, v6
	v_cmp_ne_u32_e32 vcc, 0, v4
	v_lshrrev_b32_e32 v6, 8, v7
	v_and_or_b32 v15, v16, s10, v15
	v_bfe_u32 v17, v7, 20, 11
	v_cndmask_b32_e64 v4, 0, 1, vcc
	v_cmp_ne_u32_e32 vcc, 0, v15
	v_lshrrev_b32_e32 v20, 8, v16
	v_bfe_u32 v21, v16, 20, 11
	v_sub_u32_e32 v22, 0x3f1, v17
	v_cndmask_b32_e64 v15, 0, 1, vcc
	v_and_or_b32 v4, v6, s16, v4
	v_sub_u32_e32 v23, 0x3f1, v21
	v_med3_i32 v6, v22, 0, 13
	v_and_or_b32 v15, v20, s16, v15
	v_or_b32_e32 v22, 0x1000, v4
	v_add_u32_e32 v17, 0xfffffc10, v17
	v_med3_i32 v20, v23, 0, 13
	v_cmp_ne_u32_e32 vcc, 0, v4
	v_or_b32_e32 v24, 0x1000, v15
	v_lshrrev_b32_e32 v26, v6, v22
	v_add_u32_e32 v21, 0xfffffc10, v21
	v_lshl_or_b32 v23, v17, 12, v4
	v_cndmask_b32_e64 v4, 0, 1, vcc
	v_cmp_ne_u32_e32 vcc, 0, v15
	v_lshrrev_b32_e32 v27, v20, v24
	v_lshlrev_b32_e32 v6, v6, v26
	v_lshl_or_b32 v25, v21, 12, v15
	v_cndmask_b32_e64 v15, 0, 1, vcc
	v_lshlrev_b32_e32 v20, v20, v27
	v_cmp_ne_u32_e32 vcc, v6, v22
	v_cndmask_b32_e64 v6, 0, 1, vcc
	v_cmp_ne_u32_e32 vcc, v20, v24
	v_cndmask_b32_e64 v20, 0, 1, vcc
	v_or_b32_e32 v6, v26, v6
	v_cmp_gt_i32_e32 vcc, 1, v17
	v_cndmask_b32_e32 v6, v23, v6, vcc
	v_or_b32_e32 v20, v27, v20
	v_cmp_gt_i32_e32 vcc, 1, v21
	v_and_b32_e32 v22, 7, v6
	v_cndmask_b32_e32 v20, v25, v20, vcc
	v_cmp_lt_i32_e32 vcc, 5, v22
	v_cmp_eq_u32_e64 s[0:1], 3, v22
	v_lshrrev_b32_e32 v6, 2, v6
	v_and_b32_e32 v23, 7, v20
	s_or_b64 vcc, s[0:1], vcc
	v_cmp_lt_i32_e64 s[2:3], 5, v23
	v_cmp_eq_u32_e64 s[4:5], 3, v23
	v_addc_co_u32_e32 v6, vcc, 0, v6, vcc
	v_lshrrev_b32_e32 v20, 2, v20
	s_or_b64 vcc, s[4:5], s[2:3]
	v_addc_co_u32_e32 v20, vcc, 0, v20, vcc
	v_cmp_gt_i32_e32 vcc, 31, v17
	v_cndmask_b32_e32 v6, v2, v6, vcc
	v_cmp_gt_i32_e32 vcc, 31, v21
	v_lshl_or_b32 v4, v4, 9, v2
	v_cndmask_b32_e32 v20, v2, v20, vcc
	v_cmp_eq_u32_e32 vcc, s17, v17
	v_lshrrev_b32_e32 v7, 16, v7
	v_cndmask_b32_e32 v4, v6, v4, vcc
	v_and_or_b32 v17, v7, s18, v4
	v_mov_b32_e32 v4, v14
	s_waitcnt vmcnt(5)
	v_mad_u64_u32 v[6:7], s[0:1], s9, v32, v[4:5]
	s_waitcnt lgkmcnt(0)
	v_lshrrev_b32_e32 v4, 16, v18
	v_mul_f16_sdwa v7, v4, v3 dst_sel:DWORD dst_unused:UNUSED_PAD src0_sel:DWORD src1_sel:WORD_1
	v_fma_f16 v7, v18, v3, v7
	v_cvt_f32_f16_e32 v7, v7
	v_mov_b32_e32 v14, v6
	v_lshl_or_b32 v15, v15, 9, v2
	v_cmp_eq_u32_e32 vcc, s17, v21
	v_cvt_f64_f32_e32 v[6:7], v7
	v_cndmask_b32_e32 v15, v20, v15, vcc
	v_lshrrev_b32_e32 v16, 16, v16
	v_and_or_b32 v15, v16, s18, v15
	v_mul_f64 v[6:7], v[6:7], s[14:15]
	v_and_b32_e32 v16, 0xffff, v17
	v_lshl_or_b32 v15, v15, 16, v16
	v_mov_b32_e32 v16, s13
	v_add_co_u32_e32 v17, vcc, s12, v0
	v_addc_co_u32_e32 v16, vcc, v16, v1, vcc
	v_lshlrev_b64 v[0:1], 2, v[13:14]
	v_and_or_b32 v6, v7, s10, v6
	v_add_co_u32_e32 v0, vcc, v17, v0
	v_addc_co_u32_e32 v1, vcc, v16, v1, vcc
	v_cmp_ne_u32_e32 vcc, 0, v6
	v_cndmask_b32_e64 v6, 0, 1, vcc
	v_lshrrev_b32_e32 v13, 8, v7
	v_bfe_u32 v14, v7, 20, 11
	global_store_dword v[0:1], v15, off
	v_and_or_b32 v6, v13, s16, v6
	v_sub_u32_e32 v15, 0x3f1, v14
	v_or_b32_e32 v13, 0x1000, v6
	v_med3_i32 v15, v15, 0, 13
	v_lshrrev_b32_e32 v16, v15, v13
	v_lshlrev_b32_e32 v15, v15, v16
	v_cmp_ne_u32_e32 vcc, v15, v13
	v_cndmask_b32_e64 v13, 0, 1, vcc
	v_or_b32_e32 v13, v16, v13
	v_mul_f16_sdwa v16, v18, v3 dst_sel:DWORD dst_unused:UNUSED_PAD src0_sel:DWORD src1_sel:WORD_1
	v_fma_f16 v3, v3, v4, -v16
	v_cvt_f32_f16_e32 v3, v3
	v_add_u32_e32 v14, 0xfffffc10, v14
	v_lshl_or_b32 v15, v14, 12, v6
	v_cmp_gt_i32_e32 vcc, 1, v14
	v_cvt_f64_f32_e32 v[3:4], v3
	v_cndmask_b32_e32 v13, v15, v13, vcc
	v_and_b32_e32 v15, 7, v13
	v_cmp_lt_i32_e32 vcc, 5, v15
	v_mul_f64 v[3:4], v[3:4], s[14:15]
	v_cmp_eq_u32_e64 s[0:1], 3, v15
	v_lshrrev_b32_e32 v13, 2, v13
	s_or_b64 vcc, s[0:1], vcc
	v_addc_co_u32_e32 v13, vcc, 0, v13, vcc
	v_cmp_gt_i32_e32 vcc, 31, v14
	v_cndmask_b32_e32 v13, v2, v13, vcc
	v_cmp_ne_u32_e32 vcc, 0, v6
	v_cndmask_b32_e64 v6, 0, 1, vcc
	v_lshl_or_b32 v6, v6, 9, v2
	v_cmp_eq_u32_e32 vcc, s17, v14
	v_and_or_b32 v3, v4, s10, v3
	v_cndmask_b32_e32 v6, v13, v6, vcc
	v_lshrrev_b32_e32 v7, 16, v7
	v_cmp_ne_u32_e32 vcc, 0, v3
	v_and_or_b32 v6, v7, s18, v6
	v_cndmask_b32_e64 v3, 0, 1, vcc
	v_lshrrev_b32_e32 v7, 8, v4
	v_bfe_u32 v13, v4, 20, 11
	v_and_or_b32 v3, v7, s16, v3
	v_sub_u32_e32 v14, 0x3f1, v13
	v_or_b32_e32 v7, 0x1000, v3
	v_med3_i32 v14, v14, 0, 13
	v_lshrrev_b32_e32 v15, v14, v7
	v_lshlrev_b32_e32 v14, v14, v15
	v_cmp_ne_u32_e32 vcc, v14, v7
	v_cndmask_b32_e64 v7, 0, 1, vcc
	v_add_u32_e32 v13, 0xfffffc10, v13
	v_or_b32_e32 v7, v15, v7
	v_lshl_or_b32 v14, v13, 12, v3
	v_cmp_gt_i32_e32 vcc, 1, v13
	v_cndmask_b32_e32 v7, v14, v7, vcc
	v_and_b32_e32 v14, 7, v7
	v_cmp_lt_i32_e32 vcc, 5, v14
	v_cmp_eq_u32_e64 s[0:1], 3, v14
	v_lshrrev_b32_e32 v7, 2, v7
	s_or_b64 vcc, s[0:1], vcc
	v_addc_co_u32_e32 v7, vcc, 0, v7, vcc
	v_cmp_gt_i32_e32 vcc, 31, v13
	v_cndmask_b32_e32 v7, v2, v7, vcc
	v_cmp_ne_u32_e32 vcc, 0, v3
	v_cndmask_b32_e64 v3, 0, 1, vcc
	v_lshl_or_b32 v3, v3, 9, v2
	v_cmp_eq_u32_e32 vcc, s17, v13
	v_cndmask_b32_e32 v3, v7, v3, vcc
	v_lshrrev_b32_e32 v4, 16, v4
	v_lshrrev_b32_e32 v7, 16, v19
	v_and_or_b32 v3, v4, s18, v3
	v_mul_f16_sdwa v4, v7, v5 dst_sel:DWORD dst_unused:UNUSED_PAD src0_sel:DWORD src1_sel:WORD_1
	v_fma_f16 v4, v19, v5, v4
	v_cvt_f32_f16_e32 v4, v4
	global_load_dword v15, v31, s[6:7] offset:2160
	v_and_b32_e32 v6, 0xffff, v6
	v_lshl_or_b32 v6, v3, 16, v6
	v_cvt_f64_f32_e32 v[3:4], v4
	s_mul_i32 s0, s9, 0x2d0
	s_mul_hi_u32 s2, s8, 0x2d0
	s_add_i32 s2, s2, s0
	v_mul_f64 v[3:4], v[3:4], s[14:15]
	s_mul_i32 s3, s8, 0x2d0
	v_mov_b32_e32 v13, s2
	v_add_co_u32_e32 v0, vcc, s3, v0
	v_addc_co_u32_e32 v1, vcc, v1, v13, vcc
	global_store_dword v[0:1], v6, off
	v_and_or_b32 v3, v4, s10, v3
	v_cmp_ne_u32_e32 vcc, 0, v3
	v_cndmask_b32_e64 v3, 0, 1, vcc
	v_lshrrev_b32_e32 v6, 8, v4
	v_bfe_u32 v13, v4, 20, 11
	v_and_or_b32 v3, v6, s16, v3
	v_sub_u32_e32 v14, 0x3f1, v13
	v_or_b32_e32 v6, 0x1000, v3
	v_med3_i32 v14, v14, 0, 13
	v_lshrrev_b32_e32 v16, v14, v6
	v_lshlrev_b32_e32 v14, v14, v16
	v_cmp_ne_u32_e32 vcc, v14, v6
	v_cndmask_b32_e64 v6, 0, 1, vcc
	v_or_b32_e32 v6, v16, v6
	v_mul_f16_sdwa v16, v19, v5 dst_sel:DWORD dst_unused:UNUSED_PAD src0_sel:DWORD src1_sel:WORD_1
	v_fma_f16 v5, v5, v7, -v16
	v_cvt_f32_f16_e32 v5, v5
	v_add_u32_e32 v13, 0xfffffc10, v13
	v_lshl_or_b32 v14, v13, 12, v3
	v_cmp_gt_i32_e32 vcc, 1, v13
	v_cndmask_b32_e32 v6, v14, v6, vcc
	v_and_b32_e32 v14, 7, v6
	v_lshrrev_b32_e32 v7, 2, v6
	v_cvt_f64_f32_e32 v[5:6], v5
	v_cmp_lt_i32_e32 vcc, 5, v14
	v_cmp_eq_u32_e64 s[0:1], 3, v14
	s_or_b64 vcc, s[0:1], vcc
	v_mul_f64 v[5:6], v[5:6], s[14:15]
	v_addc_co_u32_e32 v7, vcc, 0, v7, vcc
	v_cmp_gt_i32_e32 vcc, 31, v13
	v_cndmask_b32_e32 v7, v2, v7, vcc
	v_cmp_ne_u32_e32 vcc, 0, v3
	v_cndmask_b32_e64 v3, 0, 1, vcc
	v_lshl_or_b32 v3, v3, 9, v2
	v_cmp_eq_u32_e32 vcc, s17, v13
	v_cndmask_b32_e32 v3, v7, v3, vcc
	v_lshrrev_b32_e32 v4, 16, v4
	v_and_or_b32 v7, v4, s18, v3
	v_and_or_b32 v3, v6, s10, v5
	v_cmp_ne_u32_e32 vcc, 0, v3
	v_cndmask_b32_e64 v3, 0, 1, vcc
	v_lshrrev_b32_e32 v4, 8, v6
	v_and_or_b32 v5, v4, s16, v3
	v_bfe_u32 v4, v6, 20, 11
	v_sub_u32_e32 v13, 0x3f1, v4
	v_or_b32_e32 v3, 0x1000, v5
	v_med3_i32 v13, v13, 0, 13
	v_lshrrev_b32_e32 v14, v13, v3
	v_lshlrev_b32_e32 v13, v13, v14
	v_cmp_ne_u32_e32 vcc, v13, v3
	v_cndmask_b32_e64 v3, 0, 1, vcc
	v_add_u32_e32 v13, 0xfffffc10, v4
	v_or_b32_e32 v3, v14, v3
	v_lshl_or_b32 v4, v13, 12, v5
	v_cmp_gt_i32_e32 vcc, 1, v13
	v_cndmask_b32_e32 v3, v4, v3, vcc
	v_and_b32_e32 v4, 7, v3
	v_cmp_lt_i32_e32 vcc, 5, v4
	v_cmp_eq_u32_e64 s[0:1], 3, v4
	v_lshrrev_b32_e32 v3, 2, v3
	s_or_b64 vcc, s[0:1], vcc
	v_addc_co_u32_e32 v14, vcc, 0, v3, vcc
	v_add_u32_e32 v3, 0x800, v31
	ds_read2_b32 v[3:4], v3 offset0:28 offset1:208
	global_load_dword v17, v31, s[6:7] offset:2880
	global_load_dword v18, v31, s[6:7] offset:3600
	v_cmp_gt_i32_e32 vcc, 31, v13
	v_cndmask_b32_e32 v14, v2, v14, vcc
	v_cmp_ne_u32_e32 vcc, 0, v5
	s_waitcnt lgkmcnt(0)
	v_lshrrev_b32_e32 v16, 16, v3
	s_waitcnt vmcnt(3)
	v_mul_f16_sdwa v19, v16, v15 dst_sel:DWORD dst_unused:UNUSED_PAD src0_sel:DWORD src1_sel:WORD_1
	v_fma_f16 v19, v3, v15, v19
	v_cvt_f32_f16_e32 v19, v19
	v_cndmask_b32_e64 v5, 0, 1, vcc
	v_lshl_or_b32 v5, v5, 9, v2
	v_cmp_eq_u32_e32 vcc, s17, v13
	v_cndmask_b32_e32 v5, v14, v5, vcc
	v_cvt_f64_f32_e32 v[13:14], v19
	v_lshrrev_b32_e32 v6, 16, v6
	v_and_or_b32 v19, v6, s18, v5
	v_add_co_u32_e32 v0, vcc, s3, v0
	v_mul_f64 v[5:6], v[13:14], s[14:15]
	v_mov_b32_e32 v13, s2
	v_and_b32_e32 v7, 0xffff, v7
	v_addc_co_u32_e32 v1, vcc, v1, v13, vcc
	v_lshl_or_b32 v7, v19, 16, v7
	global_store_dword v[0:1], v7, off
	v_mul_f16_sdwa v3, v3, v15 dst_sel:DWORD dst_unused:UNUSED_PAD src0_sel:DWORD src1_sel:WORD_1
	v_and_or_b32 v5, v6, s10, v5
	v_cmp_ne_u32_e32 vcc, 0, v5
	v_cndmask_b32_e64 v5, 0, 1, vcc
	v_lshrrev_b32_e32 v7, 8, v6
	v_bfe_u32 v13, v6, 20, 11
	v_and_or_b32 v5, v7, s16, v5
	v_sub_u32_e32 v14, 0x3f1, v13
	v_or_b32_e32 v7, 0x1000, v5
	v_med3_i32 v14, v14, 0, 13
	v_lshrrev_b32_e32 v19, v14, v7
	v_lshlrev_b32_e32 v14, v14, v19
	v_cmp_ne_u32_e32 vcc, v14, v7
	v_cndmask_b32_e64 v7, 0, 1, vcc
	v_fma_f16 v3, v15, v16, -v3
	v_or_b32_e32 v7, v19, v7
	v_add_u32_e32 v19, 0xfffffc10, v13
	v_cvt_f32_f16_e32 v3, v3
	v_lshl_or_b32 v13, v19, 12, v5
	v_cmp_gt_i32_e32 vcc, 1, v19
	v_cndmask_b32_e32 v7, v13, v7, vcc
	v_and_b32_e32 v13, 7, v7
	v_cmp_lt_i32_e32 vcc, 5, v13
	v_cmp_eq_u32_e64 s[0:1], 3, v13
	v_cvt_f64_f32_e32 v[13:14], v3
	v_lshrrev_b32_e32 v7, 2, v7
	s_or_b64 vcc, s[0:1], vcc
	v_addc_co_u32_e32 v3, vcc, 0, v7, vcc
	v_mul_f64 v[13:14], v[13:14], s[14:15]
	v_cmp_gt_i32_e32 vcc, 31, v19
	v_cndmask_b32_e32 v3, v2, v3, vcc
	v_cmp_ne_u32_e32 vcc, 0, v5
	v_cndmask_b32_e64 v5, 0, 1, vcc
	v_lshl_or_b32 v5, v5, 9, v2
	v_cmp_eq_u32_e32 vcc, s17, v19
	v_cndmask_b32_e32 v3, v3, v5, vcc
	v_lshrrev_b32_e32 v5, 16, v6
	v_and_or_b32 v3, v5, s18, v3
	v_and_or_b32 v5, v14, s10, v13
	v_cmp_ne_u32_e32 vcc, 0, v5
	v_cndmask_b32_e64 v5, 0, 1, vcc
	v_lshrrev_b32_e32 v6, 8, v14
	v_bfe_u32 v7, v14, 20, 11
	v_and_or_b32 v5, v6, s16, v5
	v_sub_u32_e32 v13, 0x3f1, v7
	v_or_b32_e32 v6, 0x1000, v5
	v_med3_i32 v13, v13, 0, 13
	v_lshrrev_b32_e32 v15, v13, v6
	v_lshlrev_b32_e32 v13, v13, v15
	v_cmp_ne_u32_e32 vcc, v13, v6
	v_cndmask_b32_e64 v6, 0, 1, vcc
	v_add_u32_e32 v7, 0xfffffc10, v7
	v_or_b32_e32 v6, v15, v6
	v_lshl_or_b32 v13, v7, 12, v5
	v_cmp_gt_i32_e32 vcc, 1, v7
	v_cndmask_b32_e32 v6, v13, v6, vcc
	v_and_b32_e32 v13, 7, v6
	v_cmp_lt_i32_e32 vcc, 5, v13
	v_cmp_eq_u32_e64 s[0:1], 3, v13
	v_lshrrev_b32_e32 v13, 16, v4
	v_lshrrev_b32_e32 v6, 2, v6
	s_or_b64 vcc, s[0:1], vcc
	s_waitcnt vmcnt(2)
	v_mul_f16_sdwa v15, v13, v17 dst_sel:DWORD dst_unused:UNUSED_PAD src0_sel:DWORD src1_sel:WORD_1
	v_addc_co_u32_e32 v6, vcc, 0, v6, vcc
	v_fma_f16 v15, v4, v17, v15
	v_cmp_gt_i32_e32 vcc, 31, v7
	v_cvt_f32_f16_e32 v15, v15
	v_cndmask_b32_e32 v6, v2, v6, vcc
	v_cmp_ne_u32_e32 vcc, 0, v5
	v_cndmask_b32_e64 v5, 0, 1, vcc
	v_lshl_or_b32 v5, v5, 9, v2
	v_cmp_eq_u32_e32 vcc, s17, v7
	v_cndmask_b32_e32 v7, v6, v5, vcc
	v_cvt_f64_f32_e32 v[5:6], v15
	v_lshrrev_b32_e32 v14, 16, v14
	v_and_or_b32 v7, v14, s18, v7
	v_and_b32_e32 v3, 0xffff, v3
	v_mul_f64 v[5:6], v[5:6], s[14:15]
	v_lshl_or_b32 v3, v7, 16, v3
	v_mov_b32_e32 v7, s2
	v_add_co_u32_e32 v0, vcc, s3, v0
	v_addc_co_u32_e32 v1, vcc, v1, v7, vcc
	global_store_dword v[0:1], v3, off
	v_and_or_b32 v3, v6, s10, v5
	v_cmp_ne_u32_e32 vcc, 0, v3
	v_cndmask_b32_e64 v3, 0, 1, vcc
	v_lshrrev_b32_e32 v5, 8, v6
	v_bfe_u32 v7, v6, 20, 11
	v_and_or_b32 v5, v5, s16, v3
	v_sub_u32_e32 v14, 0x3f1, v7
	v_or_b32_e32 v3, 0x1000, v5
	v_med3_i32 v14, v14, 0, 13
	v_lshrrev_b32_e32 v15, v14, v3
	v_mul_f16_sdwa v4, v4, v17 dst_sel:DWORD dst_unused:UNUSED_PAD src0_sel:DWORD src1_sel:WORD_1
	v_lshlrev_b32_e32 v14, v14, v15
	v_fma_f16 v4, v17, v13, -v4
	v_cmp_ne_u32_e32 vcc, v14, v3
	v_cvt_f32_f16_e32 v4, v4
	v_cndmask_b32_e64 v3, 0, 1, vcc
	v_add_u32_e32 v7, 0xfffffc10, v7
	v_or_b32_e32 v3, v15, v3
	v_lshl_or_b32 v14, v7, 12, v5
	v_cmp_gt_i32_e32 vcc, 1, v7
	v_cndmask_b32_e32 v3, v14, v3, vcc
	v_and_b32_e32 v14, 7, v3
	v_lshrrev_b32_e32 v13, 2, v3
	v_cvt_f64_f32_e32 v[3:4], v4
	v_cmp_lt_i32_e32 vcc, 5, v14
	v_cmp_eq_u32_e64 s[0:1], 3, v14
	s_or_b64 vcc, s[0:1], vcc
	v_mul_f64 v[3:4], v[3:4], s[14:15]
	v_addc_co_u32_e32 v13, vcc, 0, v13, vcc
	v_cmp_gt_i32_e32 vcc, 31, v7
	v_cndmask_b32_e32 v13, v2, v13, vcc
	v_cmp_ne_u32_e32 vcc, 0, v5
	v_cndmask_b32_e64 v5, 0, 1, vcc
	v_lshl_or_b32 v5, v5, 9, v2
	v_cmp_eq_u32_e32 vcc, s17, v7
	v_and_or_b32 v3, v4, s10, v3
	v_cndmask_b32_e32 v5, v13, v5, vcc
	v_lshrrev_b32_e32 v6, 16, v6
	v_cmp_ne_u32_e32 vcc, 0, v3
	v_and_or_b32 v7, v6, s18, v5
	v_cndmask_b32_e64 v3, 0, 1, vcc
	v_lshrrev_b32_e32 v5, 8, v4
	v_bfe_u32 v6, v4, 20, 11
	v_and_or_b32 v3, v5, s16, v3
	v_sub_u32_e32 v13, 0x3f1, v6
	v_or_b32_e32 v5, 0x1000, v3
	v_med3_i32 v13, v13, 0, 13
	v_lshrrev_b32_e32 v14, v13, v5
	v_lshlrev_b32_e32 v13, v13, v14
	v_cmp_ne_u32_e32 vcc, v13, v5
	v_cndmask_b32_e64 v5, 0, 1, vcc
	v_add_u32_e32 v13, 0xfffffc10, v6
	v_or_b32_e32 v5, v14, v5
	v_lshl_or_b32 v6, v13, 12, v3
	v_cmp_gt_i32_e32 vcc, 1, v13
	v_cndmask_b32_e32 v5, v6, v5, vcc
	v_and_b32_e32 v6, 7, v5
	v_cmp_lt_i32_e32 vcc, 5, v6
	v_cmp_eq_u32_e64 s[0:1], 3, v6
	v_lshrrev_b32_e32 v5, 2, v5
	s_or_b64 vcc, s[0:1], vcc
	v_addc_co_u32_e32 v14, vcc, 0, v5, vcc
	v_add_u32_e32 v5, 0xe00, v31
	ds_read2_b32 v[5:6], v5 offset0:4 offset1:184
	v_cmp_gt_i32_e32 vcc, 31, v13
	v_cndmask_b32_e32 v14, v2, v14, vcc
	v_cmp_ne_u32_e32 vcc, 0, v3
	v_cndmask_b32_e64 v3, 0, 1, vcc
	s_waitcnt lgkmcnt(0)
	v_lshrrev_b32_e32 v15, 16, v5
	s_waitcnt vmcnt(2)
	v_mul_f16_sdwa v16, v15, v18 dst_sel:DWORD dst_unused:UNUSED_PAD src0_sel:DWORD src1_sel:WORD_1
	v_fma_f16 v16, v5, v18, v16
	v_cvt_f32_f16_e32 v16, v16
	v_lshl_or_b32 v3, v3, 9, v2
	v_cmp_eq_u32_e32 vcc, s17, v13
	v_cndmask_b32_e32 v3, v14, v3, vcc
	v_cvt_f64_f32_e32 v[13:14], v16
	v_lshrrev_b32_e32 v4, 16, v4
	v_and_or_b32 v16, v4, s18, v3
	v_add_co_u32_e32 v0, vcc, s3, v0
	v_mul_f64 v[3:4], v[13:14], s[14:15]
	v_mov_b32_e32 v13, s2
	v_and_b32_e32 v7, 0xffff, v7
	v_addc_co_u32_e32 v1, vcc, v1, v13, vcc
	v_lshl_or_b32 v7, v16, 16, v7
	global_store_dword v[0:1], v7, off
	v_mul_f16_sdwa v5, v5, v18 dst_sel:DWORD dst_unused:UNUSED_PAD src0_sel:DWORD src1_sel:WORD_1
	v_and_or_b32 v3, v4, s10, v3
	v_cmp_ne_u32_e32 vcc, 0, v3
	v_cndmask_b32_e64 v3, 0, 1, vcc
	v_lshrrev_b32_e32 v7, 8, v4
	v_bfe_u32 v13, v4, 20, 11
	v_and_or_b32 v3, v7, s16, v3
	v_sub_u32_e32 v14, 0x3f1, v13
	v_or_b32_e32 v7, 0x1000, v3
	v_med3_i32 v14, v14, 0, 13
	v_lshrrev_b32_e32 v16, v14, v7
	v_lshlrev_b32_e32 v14, v14, v16
	v_cmp_ne_u32_e32 vcc, v14, v7
	v_cndmask_b32_e64 v7, 0, 1, vcc
	v_fma_f16 v5, v18, v15, -v5
	v_or_b32_e32 v7, v16, v7
	v_add_u32_e32 v16, 0xfffffc10, v13
	v_cvt_f32_f16_e32 v5, v5
	v_lshl_or_b32 v13, v16, 12, v3
	v_cmp_gt_i32_e32 vcc, 1, v16
	v_cndmask_b32_e32 v7, v13, v7, vcc
	v_and_b32_e32 v13, 7, v7
	v_cmp_lt_i32_e32 vcc, 5, v13
	v_cmp_eq_u32_e64 s[0:1], 3, v13
	v_cvt_f64_f32_e32 v[13:14], v5
	v_lshrrev_b32_e32 v7, 2, v7
	s_or_b64 vcc, s[0:1], vcc
	v_addc_co_u32_e32 v5, vcc, 0, v7, vcc
	v_mul_f64 v[13:14], v[13:14], s[14:15]
	v_cmp_gt_i32_e32 vcc, 31, v16
	v_cndmask_b32_e32 v5, v2, v5, vcc
	v_cmp_ne_u32_e32 vcc, 0, v3
	v_cndmask_b32_e64 v3, 0, 1, vcc
	v_lshl_or_b32 v3, v3, 9, v2
	v_cmp_eq_u32_e32 vcc, s17, v16
	v_cndmask_b32_e32 v3, v5, v3, vcc
	v_lshrrev_b32_e32 v4, 16, v4
	v_and_or_b32 v5, v4, s18, v3
	v_and_or_b32 v3, v14, s10, v13
	v_cmp_ne_u32_e32 vcc, 0, v3
	v_cndmask_b32_e64 v3, 0, 1, vcc
	v_lshrrev_b32_e32 v4, 8, v14
	v_bfe_u32 v7, v14, 20, 11
	v_and_or_b32 v3, v4, s16, v3
	v_sub_u32_e32 v13, 0x3f1, v7
	v_or_b32_e32 v4, 0x1000, v3
	v_med3_i32 v13, v13, 0, 13
	v_lshrrev_b32_e32 v15, v13, v4
	v_lshlrev_b32_e32 v13, v13, v15
	v_cmp_ne_u32_e32 vcc, v13, v4
	v_cndmask_b32_e64 v4, 0, 1, vcc
	v_add_u32_e32 v7, 0xfffffc10, v7
	v_or_b32_e32 v4, v15, v4
	v_lshl_or_b32 v13, v7, 12, v3
	v_cmp_gt_i32_e32 vcc, 1, v7
	v_cndmask_b32_e32 v4, v13, v4, vcc
	v_and_b32_e32 v13, 7, v4
	v_cmp_lt_i32_e32 vcc, 5, v13
	v_cmp_eq_u32_e64 s[0:1], 3, v13
	v_lshrrev_b32_e32 v13, 16, v6
	v_lshrrev_b32_e32 v4, 2, v4
	s_or_b64 vcc, s[0:1], vcc
	v_mul_f16_sdwa v15, v13, v8 dst_sel:DWORD dst_unused:UNUSED_PAD src0_sel:DWORD src1_sel:WORD_1
	v_addc_co_u32_e32 v4, vcc, 0, v4, vcc
	v_fma_f16 v15, v6, v8, v15
	v_cmp_gt_i32_e32 vcc, 31, v7
	v_cvt_f32_f16_e32 v15, v15
	v_cndmask_b32_e32 v4, v2, v4, vcc
	v_cmp_ne_u32_e32 vcc, 0, v3
	v_cndmask_b32_e64 v3, 0, 1, vcc
	v_lshl_or_b32 v3, v3, 9, v2
	v_cmp_eq_u32_e32 vcc, s17, v7
	v_cndmask_b32_e32 v7, v4, v3, vcc
	v_cvt_f64_f32_e32 v[3:4], v15
	v_lshrrev_b32_e32 v14, 16, v14
	v_and_or_b32 v7, v14, s18, v7
	v_and_b32_e32 v5, 0xffff, v5
	v_mul_f64 v[3:4], v[3:4], s[14:15]
	v_lshl_or_b32 v5, v7, 16, v5
	v_mov_b32_e32 v7, s2
	v_add_co_u32_e32 v0, vcc, s3, v0
	v_addc_co_u32_e32 v1, vcc, v1, v7, vcc
	global_store_dword v[0:1], v5, off
	v_and_or_b32 v3, v4, s10, v3
	v_cmp_ne_u32_e32 vcc, 0, v3
	v_cndmask_b32_e64 v3, 0, 1, vcc
	v_lshrrev_b32_e32 v5, 8, v4
	v_bfe_u32 v7, v4, 20, 11
	v_and_or_b32 v3, v5, s16, v3
	v_sub_u32_e32 v14, 0x3f1, v7
	v_or_b32_e32 v5, 0x1000, v3
	v_med3_i32 v14, v14, 0, 13
	v_lshrrev_b32_e32 v15, v14, v5
	v_mul_f16_sdwa v6, v6, v8 dst_sel:DWORD dst_unused:UNUSED_PAD src0_sel:DWORD src1_sel:WORD_1
	v_lshlrev_b32_e32 v14, v14, v15
	v_fma_f16 v6, v8, v13, -v6
	v_cmp_ne_u32_e32 vcc, v14, v5
	v_cvt_f32_f16_e32 v6, v6
	v_cndmask_b32_e64 v5, 0, 1, vcc
	v_add_u32_e32 v7, 0xfffffc10, v7
	v_or_b32_e32 v5, v15, v5
	v_lshl_or_b32 v14, v7, 12, v3
	v_cmp_gt_i32_e32 vcc, 1, v7
	v_cndmask_b32_e32 v5, v14, v5, vcc
	v_and_b32_e32 v14, 7, v5
	v_lshrrev_b32_e32 v8, 2, v5
	v_cvt_f64_f32_e32 v[5:6], v6
	v_cmp_lt_i32_e32 vcc, 5, v14
	v_cmp_eq_u32_e64 s[0:1], 3, v14
	s_or_b64 vcc, s[0:1], vcc
	v_mul_f64 v[5:6], v[5:6], s[14:15]
	v_addc_co_u32_e32 v8, vcc, 0, v8, vcc
	v_cmp_gt_i32_e32 vcc, 31, v7
	v_cndmask_b32_e32 v8, v2, v8, vcc
	v_cmp_ne_u32_e32 vcc, 0, v3
	v_cndmask_b32_e64 v3, 0, 1, vcc
	v_lshl_or_b32 v3, v3, 9, v2
	v_cmp_eq_u32_e32 vcc, s17, v7
	v_cndmask_b32_e32 v3, v8, v3, vcc
	v_lshrrev_b32_e32 v4, 16, v4
	v_and_or_b32 v13, v4, s18, v3
	v_and_or_b32 v3, v6, s10, v5
	v_cmp_ne_u32_e32 vcc, 0, v3
	v_cndmask_b32_e64 v3, 0, 1, vcc
	v_lshrrev_b32_e32 v4, 8, v6
	v_and_or_b32 v5, v4, s16, v3
	v_bfe_u32 v4, v6, 20, 11
	v_sub_u32_e32 v7, 0x3f1, v4
	v_or_b32_e32 v3, 0x1000, v5
	v_med3_i32 v7, v7, 0, 13
	v_lshrrev_b32_e32 v8, v7, v3
	v_lshlrev_b32_e32 v7, v7, v8
	v_cmp_ne_u32_e32 vcc, v7, v3
	v_cndmask_b32_e64 v3, 0, 1, vcc
	v_add_u32_e32 v7, 0xfffffc10, v4
	v_or_b32_e32 v3, v8, v3
	v_lshl_or_b32 v4, v7, 12, v5
	v_cmp_gt_i32_e32 vcc, 1, v7
	v_cndmask_b32_e32 v3, v4, v3, vcc
	v_and_b32_e32 v4, 7, v3
	v_cmp_lt_i32_e32 vcc, 5, v4
	v_cmp_eq_u32_e64 s[0:1], 3, v4
	v_lshrrev_b32_e32 v3, 2, v3
	s_or_b64 vcc, s[0:1], vcc
	v_addc_co_u32_e32 v8, vcc, 0, v3, vcc
	v_add_u32_e32 v3, 0x1300, v31
	ds_read2_b32 v[3:4], v3 offset0:44 offset1:224
	v_cmp_gt_i32_e32 vcc, 31, v7
	v_cndmask_b32_e32 v8, v2, v8, vcc
	v_cmp_ne_u32_e32 vcc, 0, v5
	v_cndmask_b32_e64 v5, 0, 1, vcc
	s_waitcnt lgkmcnt(0)
	v_lshrrev_b32_e32 v14, 16, v3
	v_mul_f16_sdwa v15, v14, v10 dst_sel:DWORD dst_unused:UNUSED_PAD src0_sel:DWORD src1_sel:WORD_1
	v_fma_f16 v15, v3, v10, v15
	v_cvt_f32_f16_e32 v15, v15
	v_lshl_or_b32 v5, v5, 9, v2
	v_cmp_eq_u32_e32 vcc, s17, v7
	v_cndmask_b32_e32 v5, v8, v5, vcc
	v_cvt_f64_f32_e32 v[7:8], v15
	v_lshrrev_b32_e32 v6, 16, v6
	v_and_or_b32 v15, v6, s18, v5
	v_add_co_u32_e32 v0, vcc, s3, v0
	v_mul_f64 v[5:6], v[7:8], s[14:15]
	v_mov_b32_e32 v8, s2
	v_and_b32_e32 v13, 0xffff, v13
	v_addc_co_u32_e32 v1, vcc, v1, v8, vcc
	v_lshl_or_b32 v7, v15, 16, v13
	global_store_dword v[0:1], v7, off
	v_mul_f16_sdwa v3, v3, v10 dst_sel:DWORD dst_unused:UNUSED_PAD src0_sel:DWORD src1_sel:WORD_1
	v_and_or_b32 v5, v6, s10, v5
	v_cmp_ne_u32_e32 vcc, 0, v5
	v_cndmask_b32_e64 v5, 0, 1, vcc
	v_lshrrev_b32_e32 v7, 8, v6
	v_bfe_u32 v8, v6, 20, 11
	v_and_or_b32 v5, v7, s16, v5
	v_sub_u32_e32 v13, 0x3f1, v8
	v_or_b32_e32 v7, 0x1000, v5
	v_med3_i32 v13, v13, 0, 13
	v_lshrrev_b32_e32 v15, v13, v7
	v_lshlrev_b32_e32 v13, v13, v15
	v_cmp_ne_u32_e32 vcc, v13, v7
	v_fma_f16 v3, v10, v14, -v3
	v_cndmask_b32_e64 v7, 0, 1, vcc
	v_add_u32_e32 v13, 0xfffffc10, v8
	v_cvt_f32_f16_e32 v3, v3
	v_or_b32_e32 v7, v15, v7
	v_lshl_or_b32 v8, v13, 12, v5
	v_cmp_gt_i32_e32 vcc, 1, v13
	v_cndmask_b32_e32 v7, v8, v7, vcc
	v_and_b32_e32 v8, 7, v7
	v_cmp_lt_i32_e32 vcc, 5, v8
	v_cmp_eq_u32_e64 s[0:1], 3, v8
	v_lshrrev_b32_e32 v10, 2, v7
	v_cvt_f64_f32_e32 v[7:8], v3
	s_or_b64 vcc, s[0:1], vcc
	v_addc_co_u32_e32 v3, vcc, 0, v10, vcc
	v_mul_f64 v[7:8], v[7:8], s[14:15]
	v_cmp_gt_i32_e32 vcc, 31, v13
	v_cndmask_b32_e32 v3, v2, v3, vcc
	v_cmp_ne_u32_e32 vcc, 0, v5
	v_cndmask_b32_e64 v5, 0, 1, vcc
	v_lshl_or_b32 v5, v5, 9, v2
	v_cmp_eq_u32_e32 vcc, s17, v13
	v_cndmask_b32_e32 v3, v3, v5, vcc
	v_lshrrev_b32_e32 v5, 16, v6
	v_and_or_b32 v3, v5, s18, v3
	v_and_or_b32 v5, v8, s10, v7
	v_cmp_ne_u32_e32 vcc, 0, v5
	v_cndmask_b32_e64 v5, 0, 1, vcc
	v_lshrrev_b32_e32 v6, 8, v8
	v_bfe_u32 v7, v8, 20, 11
	v_and_or_b32 v5, v6, s16, v5
	v_sub_u32_e32 v10, 0x3f1, v7
	v_or_b32_e32 v6, 0x1000, v5
	v_med3_i32 v10, v10, 0, 13
	v_lshrrev_b32_e32 v13, v10, v6
	v_lshlrev_b32_e32 v10, v10, v13
	v_cmp_ne_u32_e32 vcc, v10, v6
	v_cndmask_b32_e64 v6, 0, 1, vcc
	v_add_u32_e32 v7, 0xfffffc10, v7
	v_or_b32_e32 v6, v13, v6
	v_lshl_or_b32 v10, v7, 12, v5
	v_cmp_gt_i32_e32 vcc, 1, v7
	v_cndmask_b32_e32 v6, v10, v6, vcc
	v_and_b32_e32 v10, 7, v6
	v_cmp_lt_i32_e32 vcc, 5, v10
	v_cmp_eq_u32_e64 s[0:1], 3, v10
	v_lshrrev_b32_e32 v10, 16, v4
	v_lshrrev_b32_e32 v6, 2, v6
	s_or_b64 vcc, s[0:1], vcc
	v_mul_f16_sdwa v13, v10, v11 dst_sel:DWORD dst_unused:UNUSED_PAD src0_sel:DWORD src1_sel:WORD_1
	v_addc_co_u32_e32 v6, vcc, 0, v6, vcc
	v_fma_f16 v13, v4, v11, v13
	v_cmp_gt_i32_e32 vcc, 31, v7
	v_cvt_f32_f16_e32 v13, v13
	v_cndmask_b32_e32 v6, v2, v6, vcc
	v_cmp_ne_u32_e32 vcc, 0, v5
	v_cndmask_b32_e64 v5, 0, 1, vcc
	v_lshl_or_b32 v5, v5, 9, v2
	v_cmp_eq_u32_e32 vcc, s17, v7
	v_cndmask_b32_e32 v7, v6, v5, vcc
	v_cvt_f64_f32_e32 v[5:6], v13
	v_lshrrev_b32_e32 v8, 16, v8
	v_and_or_b32 v7, v8, s18, v7
	v_and_b32_e32 v3, 0xffff, v3
	v_mul_f64 v[5:6], v[5:6], s[14:15]
	v_lshl_or_b32 v3, v7, 16, v3
	v_mov_b32_e32 v7, s2
	v_add_co_u32_e32 v0, vcc, s3, v0
	v_addc_co_u32_e32 v1, vcc, v1, v7, vcc
	global_store_dword v[0:1], v3, off
	v_and_or_b32 v3, v6, s10, v5
	v_cmp_ne_u32_e32 vcc, 0, v3
	v_cndmask_b32_e64 v3, 0, 1, vcc
	v_lshrrev_b32_e32 v5, 8, v6
	v_bfe_u32 v7, v6, 20, 11
	v_and_or_b32 v5, v5, s16, v3
	v_sub_u32_e32 v8, 0x3f1, v7
	v_or_b32_e32 v3, 0x1000, v5
	v_med3_i32 v8, v8, 0, 13
	v_lshrrev_b32_e32 v13, v8, v3
	v_lshlrev_b32_e32 v8, v8, v13
	v_mul_f16_sdwa v4, v4, v11 dst_sel:DWORD dst_unused:UNUSED_PAD src0_sel:DWORD src1_sel:WORD_1
	v_cmp_ne_u32_e32 vcc, v8, v3
	v_fma_f16 v4, v11, v10, -v4
	v_cndmask_b32_e64 v3, 0, 1, vcc
	v_add_u32_e32 v7, 0xfffffc10, v7
	v_cvt_f32_f16_e32 v4, v4
	v_or_b32_e32 v3, v13, v3
	v_lshl_or_b32 v8, v7, 12, v5
	v_cmp_gt_i32_e32 vcc, 1, v7
	v_cndmask_b32_e32 v3, v8, v3, vcc
	v_and_b32_e32 v8, 7, v3
	v_cmp_lt_i32_e32 vcc, 5, v8
	v_cmp_eq_u32_e64 s[0:1], 3, v8
	v_lshrrev_b32_e32 v8, 2, v3
	v_cvt_f64_f32_e32 v[3:4], v4
	s_or_b64 vcc, s[0:1], vcc
	v_addc_co_u32_e32 v8, vcc, 0, v8, vcc
	v_mul_f64 v[3:4], v[3:4], s[14:15]
	v_cmp_gt_i32_e32 vcc, 31, v7
	v_cndmask_b32_e32 v8, v2, v8, vcc
	v_cmp_ne_u32_e32 vcc, 0, v5
	v_cndmask_b32_e64 v5, 0, 1, vcc
	v_lshl_or_b32 v5, v5, 9, v2
	v_cmp_eq_u32_e32 vcc, s17, v7
	v_cndmask_b32_e32 v5, v8, v5, vcc
	v_and_or_b32 v3, v4, s10, v3
	v_lshrrev_b32_e32 v6, 16, v6
	v_cmp_ne_u32_e32 vcc, 0, v3
	v_and_or_b32 v10, v6, s18, v5
	v_cndmask_b32_e64 v3, 0, 1, vcc
	v_lshrrev_b32_e32 v5, 8, v4
	v_bfe_u32 v6, v4, 20, 11
	v_and_or_b32 v3, v5, s16, v3
	v_sub_u32_e32 v7, 0x3f1, v6
	v_or_b32_e32 v5, 0x1000, v3
	v_med3_i32 v7, v7, 0, 13
	v_lshrrev_b32_e32 v8, v7, v5
	v_lshlrev_b32_e32 v7, v7, v8
	v_cmp_ne_u32_e32 vcc, v7, v5
	v_cndmask_b32_e64 v5, 0, 1, vcc
	v_add_u32_e32 v7, 0xfffffc10, v6
	v_or_b32_e32 v5, v8, v5
	v_lshl_or_b32 v6, v7, 12, v3
	v_cmp_gt_i32_e32 vcc, 1, v7
	v_cndmask_b32_e32 v5, v6, v5, vcc
	v_and_b32_e32 v6, 7, v5
	v_cmp_lt_i32_e32 vcc, 5, v6
	v_cmp_eq_u32_e64 s[0:1], 3, v6
	v_lshrrev_b32_e32 v5, 2, v5
	s_or_b64 vcc, s[0:1], vcc
	v_addc_co_u32_e32 v8, vcc, 0, v5, vcc
	v_add_u32_e32 v5, 0x1900, v31
	ds_read2_b32 v[5:6], v5 offset0:20 offset1:200
	v_cmp_gt_i32_e32 vcc, 31, v7
	v_cndmask_b32_e32 v8, v2, v8, vcc
	v_cmp_ne_u32_e32 vcc, 0, v3
	v_cndmask_b32_e64 v3, 0, 1, vcc
	s_waitcnt lgkmcnt(0)
	v_lshrrev_b32_e32 v11, 16, v5
	v_mul_f16_sdwa v13, v11, v12 dst_sel:DWORD dst_unused:UNUSED_PAD src0_sel:DWORD src1_sel:WORD_1
	v_fma_f16 v13, v5, v12, v13
	v_cvt_f32_f16_e32 v13, v13
	v_lshl_or_b32 v3, v3, 9, v2
	v_cmp_eq_u32_e32 vcc, s17, v7
	v_cndmask_b32_e32 v3, v8, v3, vcc
	v_cvt_f64_f32_e32 v[7:8], v13
	v_lshrrev_b32_e32 v4, 16, v4
	v_and_or_b32 v13, v4, s18, v3
	v_add_co_u32_e32 v0, vcc, s3, v0
	v_mul_f64 v[3:4], v[7:8], s[14:15]
	v_mov_b32_e32 v8, s2
	v_and_b32_e32 v10, 0xffff, v10
	v_addc_co_u32_e32 v1, vcc, v1, v8, vcc
	v_lshl_or_b32 v7, v13, 16, v10
	global_store_dword v[0:1], v7, off
	v_mul_f16_sdwa v5, v5, v12 dst_sel:DWORD dst_unused:UNUSED_PAD src0_sel:DWORD src1_sel:WORD_1
	v_and_or_b32 v3, v4, s10, v3
	v_cmp_ne_u32_e32 vcc, 0, v3
	v_cndmask_b32_e64 v3, 0, 1, vcc
	v_lshrrev_b32_e32 v7, 8, v4
	v_bfe_u32 v8, v4, 20, 11
	v_and_or_b32 v3, v7, s16, v3
	v_sub_u32_e32 v10, 0x3f1, v8
	v_or_b32_e32 v7, 0x1000, v3
	v_med3_i32 v10, v10, 0, 13
	v_lshrrev_b32_e32 v13, v10, v7
	v_lshlrev_b32_e32 v10, v10, v13
	v_cmp_ne_u32_e32 vcc, v10, v7
	v_fma_f16 v5, v12, v11, -v5
	v_cndmask_b32_e64 v7, 0, 1, vcc
	v_add_u32_e32 v10, 0xfffffc10, v8
	v_cvt_f32_f16_e32 v5, v5
	v_or_b32_e32 v7, v13, v7
	v_lshl_or_b32 v8, v10, 12, v3
	v_cmp_gt_i32_e32 vcc, 1, v10
	v_cndmask_b32_e32 v7, v8, v7, vcc
	v_and_b32_e32 v8, 7, v7
	v_cmp_lt_i32_e32 vcc, 5, v8
	v_cmp_eq_u32_e64 s[0:1], 3, v8
	v_lshrrev_b32_e32 v11, 2, v7
	v_cvt_f64_f32_e32 v[7:8], v5
	s_or_b64 vcc, s[0:1], vcc
	v_addc_co_u32_e32 v5, vcc, 0, v11, vcc
	v_mul_f64 v[7:8], v[7:8], s[14:15]
	v_cmp_gt_i32_e32 vcc, 31, v10
	v_cndmask_b32_e32 v5, v2, v5, vcc
	v_cmp_ne_u32_e32 vcc, 0, v3
	v_cndmask_b32_e64 v3, 0, 1, vcc
	v_lshl_or_b32 v3, v3, 9, v2
	v_cmp_eq_u32_e32 vcc, s17, v10
	v_cndmask_b32_e32 v3, v5, v3, vcc
	v_lshrrev_b32_e32 v4, 16, v4
	v_and_or_b32 v5, v4, s18, v3
	v_and_or_b32 v3, v8, s10, v7
	v_cmp_ne_u32_e32 vcc, 0, v3
	v_cndmask_b32_e64 v3, 0, 1, vcc
	v_lshrrev_b32_e32 v4, 8, v8
	v_bfe_u32 v7, v8, 20, 11
	v_and_or_b32 v3, v4, s16, v3
	v_sub_u32_e32 v10, 0x3f1, v7
	v_or_b32_e32 v4, 0x1000, v3
	v_med3_i32 v10, v10, 0, 13
	v_lshrrev_b32_e32 v11, v10, v4
	v_lshlrev_b32_e32 v10, v10, v11
	v_cmp_ne_u32_e32 vcc, v10, v4
	v_cndmask_b32_e64 v4, 0, 1, vcc
	v_add_u32_e32 v7, 0xfffffc10, v7
	v_or_b32_e32 v4, v11, v4
	v_lshl_or_b32 v10, v7, 12, v3
	v_cmp_gt_i32_e32 vcc, 1, v7
	v_cndmask_b32_e32 v4, v10, v4, vcc
	v_and_b32_e32 v10, 7, v4
	v_cmp_lt_i32_e32 vcc, 5, v10
	v_cmp_eq_u32_e64 s[0:1], 3, v10
	v_lshrrev_b32_e32 v10, 16, v6
	v_lshrrev_b32_e32 v4, 2, v4
	s_or_b64 vcc, s[0:1], vcc
	v_mul_f16_sdwa v11, v10, v9 dst_sel:DWORD dst_unused:UNUSED_PAD src0_sel:DWORD src1_sel:WORD_1
	v_addc_co_u32_e32 v4, vcc, 0, v4, vcc
	v_fma_f16 v11, v6, v9, v11
	v_cmp_gt_i32_e32 vcc, 31, v7
	v_cvt_f32_f16_e32 v11, v11
	v_cndmask_b32_e32 v4, v2, v4, vcc
	v_cmp_ne_u32_e32 vcc, 0, v3
	v_cndmask_b32_e64 v3, 0, 1, vcc
	v_lshl_or_b32 v3, v3, 9, v2
	v_cmp_eq_u32_e32 vcc, s17, v7
	v_cndmask_b32_e32 v7, v4, v3, vcc
	v_cvt_f64_f32_e32 v[3:4], v11
	v_lshrrev_b32_e32 v8, 16, v8
	v_and_or_b32 v7, v8, s18, v7
	v_and_b32_e32 v5, 0xffff, v5
	v_mul_f64 v[3:4], v[3:4], s[14:15]
	v_lshl_or_b32 v5, v7, 16, v5
	v_mov_b32_e32 v7, s2
	v_add_co_u32_e32 v0, vcc, s3, v0
	v_addc_co_u32_e32 v1, vcc, v1, v7, vcc
	global_store_dword v[0:1], v5, off
	v_and_or_b32 v3, v4, s10, v3
	v_cmp_ne_u32_e32 vcc, 0, v3
	v_cndmask_b32_e64 v3, 0, 1, vcc
	v_lshrrev_b32_e32 v5, 8, v4
	v_bfe_u32 v7, v4, 20, 11
	v_and_or_b32 v3, v5, s16, v3
	v_sub_u32_e32 v8, 0x3f1, v7
	v_or_b32_e32 v5, 0x1000, v3
	v_med3_i32 v8, v8, 0, 13
	v_lshrrev_b32_e32 v11, v8, v5
	v_lshlrev_b32_e32 v8, v8, v11
	v_mul_f16_sdwa v6, v6, v9 dst_sel:DWORD dst_unused:UNUSED_PAD src0_sel:DWORD src1_sel:WORD_1
	v_cmp_ne_u32_e32 vcc, v8, v5
	v_fma_f16 v6, v9, v10, -v6
	v_cndmask_b32_e64 v5, 0, 1, vcc
	v_add_u32_e32 v7, 0xfffffc10, v7
	v_cvt_f32_f16_e32 v6, v6
	v_or_b32_e32 v5, v11, v5
	v_lshl_or_b32 v8, v7, 12, v3
	v_cmp_gt_i32_e32 vcc, 1, v7
	v_cndmask_b32_e32 v5, v8, v5, vcc
	v_and_b32_e32 v8, 7, v5
	v_cmp_lt_i32_e32 vcc, 5, v8
	v_cmp_eq_u32_e64 s[0:1], 3, v8
	v_lshrrev_b32_e32 v8, 2, v5
	v_cvt_f64_f32_e32 v[5:6], v6
	s_or_b64 vcc, s[0:1], vcc
	v_addc_co_u32_e32 v8, vcc, 0, v8, vcc
	v_mul_f64 v[5:6], v[5:6], s[14:15]
	v_cmp_gt_i32_e32 vcc, 31, v7
	v_cndmask_b32_e32 v8, v2, v8, vcc
	v_cmp_ne_u32_e32 vcc, 0, v3
	v_cndmask_b32_e64 v3, 0, 1, vcc
	v_lshl_or_b32 v3, v3, 9, v2
	v_cmp_eq_u32_e32 vcc, s17, v7
	v_cndmask_b32_e32 v3, v8, v3, vcc
	v_lshrrev_b32_e32 v4, 16, v4
	v_and_or_b32 v3, v4, s18, v3
	v_and_or_b32 v4, v6, s10, v5
	v_cmp_ne_u32_e32 vcc, 0, v4
	v_cndmask_b32_e64 v4, 0, 1, vcc
	v_lshrrev_b32_e32 v5, 8, v6
	v_bfe_u32 v7, v6, 20, 11
	v_and_or_b32 v4, v5, s16, v4
	v_sub_u32_e32 v8, 0x3f1, v7
	v_or_b32_e32 v5, 0x1000, v4
	v_med3_i32 v8, v8, 0, 13
	v_lshrrev_b32_e32 v9, v8, v5
	v_lshlrev_b32_e32 v8, v8, v9
	v_cmp_ne_u32_e32 vcc, v8, v5
	v_cndmask_b32_e64 v5, 0, 1, vcc
	v_add_u32_e32 v7, 0xfffffc10, v7
	v_or_b32_e32 v5, v9, v5
	v_lshl_or_b32 v8, v7, 12, v4
	v_cmp_gt_i32_e32 vcc, 1, v7
	v_cndmask_b32_e32 v5, v8, v5, vcc
	v_and_b32_e32 v8, 7, v5
	v_cmp_lt_i32_e32 vcc, 5, v8
	v_cmp_eq_u32_e64 s[0:1], 3, v8
	v_lshrrev_b32_e32 v5, 2, v5
	s_or_b64 vcc, s[0:1], vcc
	v_addc_co_u32_e32 v5, vcc, 0, v5, vcc
	v_cmp_gt_i32_e32 vcc, 31, v7
	v_cndmask_b32_e32 v5, v2, v5, vcc
	v_cmp_ne_u32_e32 vcc, 0, v4
	v_cndmask_b32_e64 v4, 0, 1, vcc
	v_lshl_or_b32 v2, v4, 9, v2
	v_cmp_eq_u32_e32 vcc, s17, v7
	v_cndmask_b32_e32 v2, v5, v2, vcc
	v_lshrrev_b32_e32 v4, 16, v6
	v_and_or_b32 v2, v4, s18, v2
	v_and_b32_e32 v3, 0xffff, v3
	v_lshl_or_b32 v2, v2, 16, v3
	v_mov_b32_e32 v3, s2
	v_add_co_u32_e32 v0, vcc, s3, v0
	v_addc_co_u32_e32 v1, vcc, v1, v3, vcc
	global_store_dword v[0:1], v2, off
.LBB0_31:
	s_endpgm
	.section	.rodata,"a",@progbits
	.p2align	6, 0x0
	.amdhsa_kernel bluestein_single_back_len1980_dim1_half_op_CI_CI
		.amdhsa_group_segment_fixed_size 7920
		.amdhsa_private_segment_fixed_size 0
		.amdhsa_kernarg_size 104
		.amdhsa_user_sgpr_count 6
		.amdhsa_user_sgpr_private_segment_buffer 1
		.amdhsa_user_sgpr_dispatch_ptr 0
		.amdhsa_user_sgpr_queue_ptr 0
		.amdhsa_user_sgpr_kernarg_segment_ptr 1
		.amdhsa_user_sgpr_dispatch_id 0
		.amdhsa_user_sgpr_flat_scratch_init 0
		.amdhsa_user_sgpr_private_segment_size 0
		.amdhsa_uses_dynamic_stack 0
		.amdhsa_system_sgpr_private_segment_wavefront_offset 0
		.amdhsa_system_sgpr_workgroup_id_x 1
		.amdhsa_system_sgpr_workgroup_id_y 0
		.amdhsa_system_sgpr_workgroup_id_z 0
		.amdhsa_system_sgpr_workgroup_info 0
		.amdhsa_system_vgpr_workitem_id 0
		.amdhsa_next_free_vgpr 154
		.amdhsa_next_free_sgpr 29
		.amdhsa_reserve_vcc 1
		.amdhsa_reserve_flat_scratch 0
		.amdhsa_float_round_mode_32 0
		.amdhsa_float_round_mode_16_64 0
		.amdhsa_float_denorm_mode_32 3
		.amdhsa_float_denorm_mode_16_64 3
		.amdhsa_dx10_clamp 1
		.amdhsa_ieee_mode 1
		.amdhsa_fp16_overflow 0
		.amdhsa_exception_fp_ieee_invalid_op 0
		.amdhsa_exception_fp_denorm_src 0
		.amdhsa_exception_fp_ieee_div_zero 0
		.amdhsa_exception_fp_ieee_overflow 0
		.amdhsa_exception_fp_ieee_underflow 0
		.amdhsa_exception_fp_ieee_inexact 0
		.amdhsa_exception_int_div_zero 0
	.end_amdhsa_kernel
	.text
.Lfunc_end0:
	.size	bluestein_single_back_len1980_dim1_half_op_CI_CI, .Lfunc_end0-bluestein_single_back_len1980_dim1_half_op_CI_CI
                                        ; -- End function
	.section	.AMDGPU.csdata,"",@progbits
; Kernel info:
; codeLenInByte = 21520
; NumSgprs: 33
; NumVgprs: 154
; ScratchSize: 0
; MemoryBound: 0
; FloatMode: 240
; IeeeMode: 1
; LDSByteSize: 7920 bytes/workgroup (compile time only)
; SGPRBlocks: 4
; VGPRBlocks: 38
; NumSGPRsForWavesPerEU: 33
; NumVGPRsForWavesPerEU: 154
; Occupancy: 1
; WaveLimiterHint : 1
; COMPUTE_PGM_RSRC2:SCRATCH_EN: 0
; COMPUTE_PGM_RSRC2:USER_SGPR: 6
; COMPUTE_PGM_RSRC2:TRAP_HANDLER: 0
; COMPUTE_PGM_RSRC2:TGID_X_EN: 1
; COMPUTE_PGM_RSRC2:TGID_Y_EN: 0
; COMPUTE_PGM_RSRC2:TGID_Z_EN: 0
; COMPUTE_PGM_RSRC2:TIDIG_COMP_CNT: 0
	.type	__hip_cuid_107ac881611700b0,@object ; @__hip_cuid_107ac881611700b0
	.section	.bss,"aw",@nobits
	.globl	__hip_cuid_107ac881611700b0
__hip_cuid_107ac881611700b0:
	.byte	0                               ; 0x0
	.size	__hip_cuid_107ac881611700b0, 1

	.ident	"AMD clang version 19.0.0git (https://github.com/RadeonOpenCompute/llvm-project roc-6.4.0 25133 c7fe45cf4b819c5991fe208aaa96edf142730f1d)"
	.section	".note.GNU-stack","",@progbits
	.addrsig
	.addrsig_sym __hip_cuid_107ac881611700b0
	.amdgpu_metadata
---
amdhsa.kernels:
  - .args:
      - .actual_access:  read_only
        .address_space:  global
        .offset:         0
        .size:           8
        .value_kind:     global_buffer
      - .actual_access:  read_only
        .address_space:  global
        .offset:         8
        .size:           8
        .value_kind:     global_buffer
      - .actual_access:  read_only
        .address_space:  global
        .offset:         16
        .size:           8
        .value_kind:     global_buffer
      - .actual_access:  read_only
        .address_space:  global
        .offset:         24
        .size:           8
        .value_kind:     global_buffer
      - .actual_access:  read_only
        .address_space:  global
        .offset:         32
        .size:           8
        .value_kind:     global_buffer
      - .offset:         40
        .size:           8
        .value_kind:     by_value
      - .address_space:  global
        .offset:         48
        .size:           8
        .value_kind:     global_buffer
      - .address_space:  global
        .offset:         56
        .size:           8
        .value_kind:     global_buffer
      - .address_space:  global
        .offset:         64
        .size:           8
        .value_kind:     global_buffer
      - .address_space:  global
        .offset:         72
        .size:           8
        .value_kind:     global_buffer
      - .offset:         80
        .size:           4
        .value_kind:     by_value
      - .address_space:  global
        .offset:         88
        .size:           8
        .value_kind:     global_buffer
      - .address_space:  global
        .offset:         96
        .size:           8
        .value_kind:     global_buffer
    .group_segment_fixed_size: 7920
    .kernarg_segment_align: 8
    .kernarg_segment_size: 104
    .language:       OpenCL C
    .language_version:
      - 2
      - 0
    .max_flat_workgroup_size: 198
    .name:           bluestein_single_back_len1980_dim1_half_op_CI_CI
    .private_segment_fixed_size: 0
    .sgpr_count:     33
    .sgpr_spill_count: 0
    .symbol:         bluestein_single_back_len1980_dim1_half_op_CI_CI.kd
    .uniform_work_group_size: 1
    .uses_dynamic_stack: false
    .vgpr_count:     154
    .vgpr_spill_count: 0
    .wavefront_size: 64
amdhsa.target:   amdgcn-amd-amdhsa--gfx906
amdhsa.version:
  - 1
  - 2
...

	.end_amdgpu_metadata
